;; amdgpu-corpus repo=ROCm/aiter kind=harvested arch=n/a opt=n/a

/root/src/amdgpu-assembly/repos/ROCm__aiter/hsa/gfx950/fmha_v3_bwd/bwd_hd64_bf16_a32_rtna_pssk.co:	file format elf64-amdgpu

Disassembly of section .text:

0000000000004000 <_ZN5aiter42fmha_bwd_hd64_bf16_a32_rtna_pssk_recompileE>:
	s_and_b32 s1, s1, 0xffff                                   // 000000004000: 8601FF01 0000FFFF
	s_load_dwordx2 s[32:33], s[0:1], 0x0                       // 000000004008: C0060800 00000000
	s_load_dwordx2 s[36:37], s[0:1], 0x10                      // 000000004010: C0060900 00000010
	s_load_dwordx2 s[40:41], s[0:1], 0x20                      // 000000004018: C0060A00 00000020
	s_load_dwordx2 s[8:9], s[0:1], 0x30                        // 000000004020: C0060200 00000030
	s_load_dwordx2 s[12:13], s[0:1], 0x40                      // 000000004028: C0060300 00000040
	s_load_dwordx2 s[16:17], s[0:1], 0x50                      // 000000004030: C0060400 00000050
	s_load_dwordx2 s[20:21], s[0:1], 0x60                      // 000000004038: C0060500 00000060
	s_load_dwordx2 s[24:25], s[0:1], 0x70                      // 000000004040: C0060600 00000070
	s_load_dwordx2 s[28:29], s[0:1], 0x80                      // 000000004048: C0060700 00000080
	s_load_dword s47, s[0:1], 0x90                             // 000000004050: C0020BC0 00000090
	s_load_dword s48, s[0:1], 0xa0                             // 000000004058: C0020C00 000000A0
	s_load_dword s49, s[0:1], 0xb0                             // 000000004060: C0020C40 000000B0
	s_load_dword s74, s[0:1], 0xd0                             // 000000004068: C0021280 000000D0
	s_load_dword s75, s[0:1], 0xe0                             // 000000004070: C00212C0 000000E0
	s_load_dword s5, s[0:1], 0xf0                              // 000000004078: C0020140 000000F0
	s_load_dword s44, s[0:1], 0x100                            // 000000004080: C0020B00 00000100
	s_load_dword s76, s[0:1], 0x110                            // 000000004088: C0021300 00000110
	s_load_dword s77, s[0:1], 0x120                            // 000000004090: C0021340 00000120
	s_load_dword s6, s[0:1], 0x130                             // 000000004098: C0020180 00000130
	s_load_dword s52, s[0:1], 0x140                            // 0000000040A0: C0020D00 00000140
	s_load_dword s50, s[0:1], 0x150                            // 0000000040A8: C0020C80 00000150
	s_load_dword s96, s[0:1], 0x180                            // 0000000040B0: C0021800 00000180
	s_load_dword s86, s[0:1], 0x190                            // 0000000040B8: C0021580 00000190
	s_load_dword s87, s[0:1], 0x1a0                            // 0000000040C0: C00215C0 000001A0
	s_load_dword s7, s[0:1], 0x1b0                             // 0000000040C8: C00201C0 000001B0
	s_load_dword s88, s[0:1], 0x1c0                            // 0000000040D0: C0021600 000001C0
	s_load_dword s89, s[0:1], 0x1d0                            // 0000000040D8: C0021640 000001D0
	s_load_dword s51, s[0:1], 0x1e0                            // 0000000040E0: C0020CC0 000001E0
	s_load_dword s90, s[0:1], 0x1f0                            // 0000000040E8: C0021680 000001F0
	s_load_dword s91, s[0:1], 0x200                            // 0000000040F0: C00216C0 00000200
	s_load_dword s92, s[0:1], 0x210                            // 0000000040F8: C0021700 00000210
	s_load_dword s93, s[0:1], 0x220                            // 000000004100: C0021740 00000220
	s_load_dword s53, s[0:1], 0x230                            // 000000004108: C0020D40 00000230
	v_lshrrev_b32_e32 v1, 10, v0                               // 000000004110: 2002008A
	v_lshrrev_b32_e32 v2, 10, v1                               // 000000004114: 2004028A
	v_and_b32_e32 v2, 0x3ff, v2                                // 000000004118: 260404FF 000003FF
	v_and_b32_e32 v1, 0x3ff, v1                                // 000000004120: 260202FF 000003FF
	v_and_b32_e32 v0, 0x3ff, v0                                // 000000004128: 260000FF 000003FF
	v_lshrrev_b32_e32 v3, 6, v0                                // 000000004130: 20060086
	v_and_b32_e32 v0, 63, v0                                   // 000000004134: 260000BF
	s_mov_b32 s2, s2                                           // 000000004138: BE820002
	s_mov_b32 s3, s3                                           // 00000000413C: BE830003
	s_mov_b32 s4, s4                                           // 000000004140: BE840004
	v_readfirstlane_b32 s46, v3                                // 000000004144: 7E5C0503
	s_waitcnt lgkmcnt(0)                                       // 000000004148: BF8CC07F
	s_mov_b32 s11, 0x20000                                     // 00000000414C: BE8B00FF 00020000
	s_mov_b32 s15, 0x20000                                     // 000000004154: BE8F00FF 00020000
	s_mov_b32 s19, 0x20000                                     // 00000000415C: BE9300FF 00020000
	s_mov_b32 s23, 0x20000                                     // 000000004164: BE9700FF 00020000
	s_mov_b32 s27, 0x20000                                     // 00000000416C: BE9B00FF 00020000
	s_mov_b32 s31, 0x20000                                     // 000000004174: BE9F00FF 00020000
	s_mov_b32 s35, 0x20000                                     // 00000000417C: BEA300FF 00020000
	s_mov_b32 s39, 0x20000                                     // 000000004184: BEA700FF 00020000
	s_mov_b32 s43, 0x20000                                     // 00000000418C: BEAB00FF 00020000
	s_and_b32 s9, s9, 0xffff                                   // 000000004194: 8609FF09 0000FFFF
	s_and_b32 s13, s13, 0xffff                                 // 00000000419C: 860DFF0D 0000FFFF
	s_and_b32 s17, s17, 0xffff                                 // 0000000041A4: 8611FF11 0000FFFF
	s_and_b32 s21, s21, 0xffff                                 // 0000000041AC: 8615FF15 0000FFFF
	s_and_b32 s25, s25, 0xffff                                 // 0000000041B4: 8619FF19 0000FFFF
	s_and_b32 s29, s29, 0xffff                                 // 0000000041BC: 861DFF1D 0000FFFF
	s_and_b32 s33, s33, 0xffff                                 // 0000000041C4: 8621FF21 0000FFFF
	s_and_b32 s37, s37, 0xffff                                 // 0000000041CC: 8625FF25 0000FFFF
	s_and_b32 s41, s41, 0xffff                                 // 0000000041D4: 8629FF29 0000FFFF
	s_or_b32 s9, s9, 0x40000                                   // 0000000041DC: 8709FF09 00040000
	s_or_b32 s13, s13, 0x40000                                 // 0000000041E4: 870DFF0D 00040000
	s_or_b32 s17, s17, 0x40000                                 // 0000000041EC: 8711FF11 00040000
	s_or_b32 s21, s21, 0x40000                                 // 0000000041F4: 8715FF15 00040000
	s_or_b32 s25, s25, 0x40000                                 // 0000000041FC: 8719FF19 00040000
	s_or_b32 s29, s29, 0x40000                                 // 000000004204: 871DFF1D 00040000
	s_or_b32 s33, s33, 0x40000                                 // 00000000420C: 8721FF21 00040000
	s_or_b32 s37, s37, 0x40000                                 // 000000004214: 8725FF25 00040000
	s_or_b32 s41, s41, 0x40000                                 // 00000000421C: 8729FF29 00040000
	v_accvgpr_write_b32 a159, 0                                // 000000004224: D3D9409F 18000080
	v_mov_b32_e32 v234, 0                                      // 00000000422C: 7FD40280
	s_mov_b32 s78, s8                                          // 000000004230: BECE0008
	s_mov_b32 s80, s12                                         // 000000004234: BED0000C
	s_mov_b32 s82, s16                                         // 000000004238: BED20010
	s_mov_b32 s84, s20                                         // 00000000423C: BED40014
	s_mov_b32 s79, s9                                          // 000000004240: BECF0009
	s_mov_b32 s81, s13                                         // 000000004244: BED1000D
	s_mov_b32 s83, s17                                         // 000000004248: BED30011
	s_mov_b32 s85, s21                                         // 00000000424C: BED50015
	s_mov_b32 s71, s3                                          // 000000004250: BEC70003
	v_cvt_f32_u32_e32 v32, s44                                 // 000000004254: 7E400C2C
	s_sub_i32 s60, 0, s44                                      // 000000004258: 81BC2C80
	v_rcp_iflag_f32_e32 v32, v32                               // 00000000425C: 7E404720
	s_nop 0                                                    // 000000004260: BF800000
	v_mul_f32_e32 v32, 0x4f7ffffe, v32                         // 000000004264: 0A4040FF 4F7FFFFE
	v_cvt_u32_f32_e32 v32, v32                                 // 00000000426C: 7E400F20
	v_mul_lo_u32 v33, s60, v32                                 // 000000004270: D2850021 0002403C
	v_mul_hi_u32 v33, v32, v33                                 // 000000004278: D2860021 00024320
	v_add_u32_e32 v32, v32, v33                                // 000000004280: 68404320
	v_mul_hi_u32 v32, s71, v32                                 // 000000004284: D2860020 00024047
	v_mul_lo_u32 v33, v32, s44                                 // 00000000428C: D2850021 00005920
	v_sub_u32_e32 v35, s71, v33                                // 000000004294: 6A464247
	v_add_u32_e32 v34, 1, v32                                  // 000000004298: 68444081
	v_cmp_le_u32_e32 vcc, s44, v35                             // 00000000429C: 7D96462C
	v_subrev_u32_e32 v33, s44, v35                             // 0000000042A0: 6C42462C
	s_nop 0                                                    // 0000000042A4: BF800000
	v_cndmask_b32_e32 v32, v32, v34, vcc                       // 0000000042A8: 00404520
	v_cndmask_b32_e32 v35, v35, v33, vcc                       // 0000000042AC: 00464323
	v_add_u32_e32 v33, 1, v32                                  // 0000000042B0: 68424081
	v_cmp_le_u32_e32 vcc, s44, v35                             // 0000000042B4: 7D96462C
	s_nop 1                                                    // 0000000042B8: BF800001
	v_cndmask_b32_e32 v35, v32, v33, vcc                       // 0000000042BC: 00464320
	s_nop 3                                                    // 0000000042C0: BF800003
	v_readfirstlane_b32 s45, v35                               // 0000000042C4: 7E5A0523
	s_nop 3                                                    // 0000000042C8: BF800003
	v_mov_b32_e32 v32, s47                                     // 0000000042CC: 7E40022F
	v_mul_f32_e32 v32, s48, v32                                // 0000000042D0: 0A404030
	s_mov_b32 s66, 0                                           // 0000000042D4: BEC20080
	s_mov_b32 s58, s49                                         // 0000000042D8: BEBA0031
	s_mov_b32 s59, 0                                           // 0000000042DC: BEBB0080
	s_mov_b32 s63, 0x5040100                                   // 0000000042E0: BEBF00FF 05040100
	s_mov_b32 s64, 0x7060302                                   // 0000000042E8: BEC000FF 07060302
	v_readfirstlane_b32 s57, v32                               // 0000000042F0: 7E720520
	v_mov_b32_e32 v34, 0x3020706                               // 0000000042F4: 7E4402FF 03020706
	v_mov_b32_e32 v32, s63                                     // 0000000042FC: 7E40023F
	v_and_b32_e32 v33, 1, v0                                   // 000000004300: 26420081
	v_cmp_eq_u32_e32 vcc, 1, v33                               // 000000004304: 7D944281
	s_mov_b32 s67, 0x800                                       // 000000004308: BEC300FF 00000800
	v_cndmask_b32_e32 v17, v32, v34, vcc                       // 000000004310: 00224520
	v_mov_b32_e32 v230, 0xff800000                             // 000000004314: 7FCC02FF FF800000
	s_mul_i32 s68, 8, s5                                       // 00000000431C: 92440588
	s_mul_i32 s95, 8, s51                                      // 000000004320: 925F3388
	s_mov_b32 s69, 32                                          // 000000004324: BEC500A0
	s_mul_i32 s60, s6, 0xc0                                    // 000000004328: 923CFF06 000000C0
	s_mul_i32 s60, s2, s60                                     // 000000004330: 923C3C02
	s_mul_i32 s61, s45, s76                                    // 000000004334: 923D4C2D
	s_add_u32 s54, s60, s61                                    // 000000004338: 80363D3C
	s_mul_i32 s60, s2, 0xc0                                    // 00000000433C: 923CFF02 000000C0
	s_sub_i32 s60, s50, s60                                    // 000000004344: 81BC3C32
	s_mul_i32 s60, s6, s60                                     // 000000004348: 923C3C06
	s_lshr_b32 s60, s60, 2                                     // 00000000434C: 8F3C823C
	s_mov_b32 s14, s60                                         // 000000004350: BE8E003C
	s_add_u32 s12, s54, s80                                    // 000000004354: 800C5036
	s_addc_u32 s13, 0, s81                                     // 000000004358: 820D5180
	s_mul_i32 s60, s4, s77                                     // 00000000435C: 923C4D04
	s_mul_hi_u32 s61, s4, s77                                  // 000000004360: 963D4D04
	s_and_b32 s61, s61, 0xffff                                 // 000000004364: 863DFF3D 0000FFFF
	s_add_u32 s12, s12, s60                                    // 00000000436C: 800C3C0C
	s_addc_u32 s13, s13, s61                                   // 000000004370: 820D3D0D
	s_mul_i32 s60, s7, 0xc0                                    // 000000004374: 923CFF07 000000C0
	s_mul_i32 s60, s2, s60                                     // 00000000437C: 923C3C02
	s_mul_i32 s61, s45, s86                                    // 000000004380: 923D562D
	s_add_u32 s54, s60, s61                                    // 000000004384: 80363D3C
	s_mul_i32 s60, s2, 0xc0                                    // 000000004388: 923CFF02 000000C0
	s_sub_i32 s60, s50, s60                                    // 000000004390: 81BC3C32
	s_mul_i32 s60, s7, s60                                     // 000000004394: 923C3C07
	s_lshr_b32 s60, s60, 2                                     // 000000004398: 8F3C823C
	s_mov_b32 s18, s60                                         // 00000000439C: BE92003C
	s_add_u32 s16, s54, s82                                    // 0000000043A0: 80105236
	s_addc_u32 s17, 0, s83                                     // 0000000043A4: 82115380
	s_mul_i32 s60, s4, s87                                     // 0000000043A8: 923C5704
	s_mul_hi_u32 s61, s4, s87                                  // 0000000043AC: 963D5704
	s_and_b32 s61, s61, 0xffff                                 // 0000000043B0: 863DFF3D 0000FFFF
	s_add_u32 s16, s16, s60                                    // 0000000043B8: 80103C10
	s_addc_u32 s17, s17, s61                                   // 0000000043BC: 82113D11
	s_mul_i32 s61, s3, s74                                     // 0000000043C0: 923D4A03
	s_mov_b32 s55, s61                                         // 0000000043C4: BEB7003D
	s_mul_i32 s60, s5, s49                                     // 0000000043C8: 923C3105
	s_lshr_b32 s60, s60, 2                                     // 0000000043CC: 8F3C823C
	s_mov_b32 s10, s60                                         // 0000000043D0: BE8A003C
	s_add_u32 s8, s55, s78                                     // 0000000043D4: 80084E37
	s_addc_u32 s9, 0, s79                                      // 0000000043D8: 82094F80
	s_mul_i32 s60, s4, s75                                     // 0000000043DC: 923C4B04
	s_mul_hi_u32 s61, s4, s75                                  // 0000000043E0: 963D4B04
	s_and_b32 s61, s61, 0xffff                                 // 0000000043E4: 863DFF3D 0000FFFF
	s_add_u32 s8, s8, s60                                      // 0000000043EC: 80083C08
	s_addc_u32 s9, s9, s61                                     // 0000000043F0: 82093D09
	s_mul_i32 s61, s3, s88                                     // 0000000043F4: 923D5803
	s_mov_b32 s56, s61                                         // 0000000043F8: BEB8003D
	s_mul_i32 s60, s51, s49                                    // 0000000043FC: 923C3133
	s_lshr_b32 s60, s60, 2                                     // 000000004400: 8F3C823C
	s_mov_b32 s22, s60                                         // 000000004404: BE96003C
	s_add_u32 s20, s56, s84                                    // 000000004408: 80145438
	s_addc_u32 s21, 0, s85                                     // 00000000440C: 82155580
	s_mul_i32 s60, s4, s89                                     // 000000004410: 923C5904
	s_mul_hi_u32 s61, s4, s89                                  // 000000004414: 963D5904
	s_and_b32 s61, s61, 0xffff                                 // 000000004418: 863DFF3D 0000FFFF
	s_add_u32 s20, s20, s60                                    // 000000004420: 80143C14
	s_addc_u32 s21, s21, s61                                   // 000000004424: 82153D15
	s_mul_i32 s62, s4, s96                                     // 000000004428: 923E6004
	s_mul_i32 s62, s62, s49                                    // 00000000442C: 923E313E
	s_lshl_b32 s62, s62, 2                                     // 000000004430: 8E3E823E
	s_mul_i32 s61, s3, s49                                     // 000000004434: 923D3103
	s_mul_i32 s61, 4, s61                                      // 000000004438: 923D3D84
	s_add_u32 s65, s61, s62                                    // 00000000443C: 80413E3D
	s_mul_i32 s60, 4, s49                                      // 000000004440: 923C3184
	s_add_u32 s60, s60, s61                                    // 000000004444: 803C3D3C
	s_add_u32 s60, s60, s62                                    // 000000004448: 803C3E3C
	s_lshr_b32 s60, s60, 2                                     // 00000000444C: 8F3C823C
	s_mov_b32 s26, s60                                         // 000000004450: BE9A003C
	s_mov_b32 s30, s60                                         // 000000004454: BE9E003C
	s_cmp_lt_u32 s46, 2                                        // 000000004458: BF0A822E
	s_cselect_b32 s24, s24, s28                                // 00000000445C: 85181C18
	s_cselect_b32 s25, s25, s29                                // 000000004460: 85191D19
	s_cselect_b32 s26, s26, s30                                // 000000004464: 851A1E1A
	s_cselect_b32 s27, s27, s31                                // 000000004468: 851B1F1B
	s_mov_b32 s71, s6                                          // 00000000446C: BEC70006
	v_lshrrev_b32_e32 v32, 4, v0                               // 000000004470: 20400084
	v_and_b32_e32 v33, 1, v32                                  // 000000004474: 26424081
	v_lshlrev_b32_e32 v33, 1, v33                              // 000000004478: 24424281
	v_mul_i32_i24_e32 v33, s71, v33                            // 00000000447C: 0C424247
	v_and_b32_e32 v34, 2, v32                                  // 000000004480: 26444082
	v_lshlrev_b32_e32 v34, 5, v34                              // 000000004484: 24444485
	v_add_u32_e32 v33, v34, v33                                // 000000004488: 68424322
	v_and_b32_e32 v32, 15, v0                                  // 00000000448C: 2640008F
	v_lshlrev_b32_e32 v32, 2, v32                              // 000000004490: 24404082
	v_add_u32_e32 v1, v32, v33                                 // 000000004494: 68024320
	s_mul_i32 s60, s46, s71                                    // 000000004498: 923C472E
	s_mul_i32 s60, s60, 4                                      // 00000000449C: 923C843C
	v_add_u32_e32 v1, s60, v1                                  // 0000000044A0: 6802023C
	v_add_u32_e32 v2, s71, v1                                  // 0000000044A4: 68040247
	s_mul_i32 s60, 16, s71                                     // 0000000044A8: 923C4790
	v_add_u32_e32 v3, s60, v1                                  // 0000000044AC: 6806023C
	v_add_u32_e32 v4, s60, v2                                  // 0000000044B0: 6808043C
	s_mov_b32 s71, s7                                          // 0000000044B4: BEC70007
	v_lshrrev_b32_e32 v32, 4, v0                               // 0000000044B8: 20400084
	v_and_b32_e32 v33, 1, v32                                  // 0000000044BC: 26424081
	v_lshlrev_b32_e32 v33, 1, v33                              // 0000000044C0: 24424281
	v_mul_i32_i24_e32 v33, s71, v33                            // 0000000044C4: 0C424247
	v_and_b32_e32 v34, 2, v32                                  // 0000000044C8: 26444082
	v_lshlrev_b32_e32 v34, 5, v34                              // 0000000044CC: 24444485
	v_add_u32_e32 v33, v34, v33                                // 0000000044D0: 68424322
	v_and_b32_e32 v32, 15, v0                                  // 0000000044D4: 2640008F
	v_lshlrev_b32_e32 v32, 2, v32                              // 0000000044D8: 24404082
	v_add_u32_e32 v231, v32, v33                               // 0000000044DC: 69CE4320
	s_mul_i32 s60, s46, s71                                    // 0000000044E0: 923C472E
	s_mul_i32 s60, s60, 4                                      // 0000000044E4: 923C843C
	v_add_u32_e32 v231, s60, v231                              // 0000000044E8: 69CFCE3C
	v_add_u32_e32 v232, s71, v231                              // 0000000044EC: 69D1CE47
	s_mul_i32 s60, 16, s71                                     // 0000000044F0: 923C4790
	v_add_u32_e32 v233, s60, v231                              // 0000000044F4: 69D3CE3C
	v_add_u32_e32 v234, s60, v232                              // 0000000044F8: 69D5D03C
	v_lshrrev_b32_e32 v1, 2, v1                                // 0000000044FC: 20020282
	v_lshrrev_b32_e32 v2, 2, v2                                // 000000004500: 20040482
	v_lshrrev_b32_e32 v231, 2, v231                            // 000000004504: 21CFCE82
	v_lshrrev_b32_e32 v232, 2, v232                            // 000000004508: 21D1D082
	v_and_b32_e32 v11, 31, v0                                  // 00000000450C: 2616009F
	v_lshlrev_b32_e32 v11, 2, v11                              // 000000004510: 24161682
	v_add_u32_e32 v11, s65, v11                                // 000000004514: 68161641
	v_lshrrev_b32_e32 v11, 2, v11                              // 000000004518: 20161682
	s_mov_b32 s70, s52                                         // 00000000451C: BEC60034
	v_lshrrev_b32_e32 v32, 3, v0                               // 000000004520: 20400083
	v_mul_i32_i24_e32 v5, s70, v32                             // 000000004524: 0C0A4046
	v_lshrrev_b32_e32 v5, 2, v5                                // 000000004528: 200A0A82
	v_and_b32_e32 v32, 7, v0                                   // 00000000452C: 26400087
	v_lshlrev_b32_e32 v33, 2, v32                              // 000000004530: 24424082
	v_add_u32_e32 v5, v33, v5                                  // 000000004534: 680A0B21
	s_mul_i32 s60, 16, s70                                     // 000000004538: 923C4690
	s_mul_i32 s60, s46, s60                                    // 00000000453C: 923C3C2E
	v_lshlrev_b32_e32 v5, 2, v5                                // 000000004540: 240A0A82
	v_add_u32_e32 v5, s60, v5                                  // 000000004544: 680A0A3C
	s_mul_i32 s60, 0xc0, s52                                   // 000000004548: 923C34FF 000000C0
	s_mul_i32 s60, s2, s60                                     // 000000004550: 923C3C02
	s_mul_i32 s61, s3, s90                                     // 000000004554: 923D5A03
	s_mul_i32 s62, s4, s91                                     // 000000004558: 923E5B04
	s_add_u32 s60, s60, s61                                    // 00000000455C: 803C3D3C
	v_add_u32_e32 v5, s60, v5                                  // 000000004560: 680A0A3C
	v_lshrrev_b32_e32 v5, 2, v5                                // 000000004564: 200A0A82
	s_mul_i32 s60, s50, s52                                    // 000000004568: 923C3432
	s_add_u32 s60, s60, s61                                    // 00000000456C: 803C3D3C
	s_lshr_b32 s60, s60, 2                                     // 000000004570: 8F3C823C
	s_mov_b32 s38, s60                                         // 000000004574: BEA6003C
	s_mul_hi_u32 s60, s4, s91                                  // 000000004578: 963C5B04
	s_and_b32 s60, s60, 0xffff                                 // 00000000457C: 863CFF3C 0000FFFF
	s_add_u32 s36, s62, s36                                    // 000000004584: 8024243E
	s_addc_u32 s37, s60, s37                                   // 000000004588: 8225253C
	s_mov_b32 s70, s53                                         // 00000000458C: BEC60035
	v_lshrrev_b32_e32 v32, 3, v0                               // 000000004590: 20400083
	v_mul_i32_i24_e32 v10, s70, v32                            // 000000004594: 0C144046
	v_lshrrev_b32_e32 v10, 2, v10                              // 000000004598: 20141482
	v_and_b32_e32 v32, 7, v0                                   // 00000000459C: 26400087
	v_lshlrev_b32_e32 v33, 2, v32                              // 0000000045A0: 24424082
	v_add_u32_e32 v10, v33, v10                                // 0000000045A4: 68141521
	s_mul_i32 s60, 16, s70                                     // 0000000045A8: 923C4690
	s_mul_i32 s60, s46, s60                                    // 0000000045AC: 923C3C2E
	v_lshlrev_b32_e32 v10, 2, v10                              // 0000000045B0: 24141482
	v_add_u32_e32 v10, s60, v10                                // 0000000045B4: 6814143C
	s_mul_i32 s60, 0xc0, s53                                   // 0000000045B8: 923C35FF 000000C0
	s_mul_i32 s60, s2, s60                                     // 0000000045C0: 923C3C02
	s_mul_i32 s61, s3, s92                                     // 0000000045C4: 923D5C03
	s_mul_i32 s62, s4, s93                                     // 0000000045C8: 923E5D04
	s_add_u32 s60, s60, s61                                    // 0000000045CC: 803C3D3C
	v_add_u32_e32 v10, s60, v10                                // 0000000045D0: 6814143C
	v_lshrrev_b32_e32 v10, 2, v10                              // 0000000045D4: 20141482
	s_mul_i32 s60, s50, s53                                    // 0000000045D8: 923C3532
	s_add_u32 s60, s60, s61                                    // 0000000045DC: 803C3D3C
	s_lshr_b32 s60, s60, 2                                     // 0000000045E0: 8F3C823C
	s_mov_b32 s42, s60                                         // 0000000045E4: BEAA003C
	s_mul_hi_u32 s60, s4, s93                                  // 0000000045E8: 963C5D04
	s_and_b32 s60, s60, 0xffff                                 // 0000000045EC: 863CFF3C 0000FFFF
	s_add_u32 s40, s62, s40                                    // 0000000045F4: 8028283E
	s_addc_u32 s41, s60, s41                                   // 0000000045F8: 8229293C
	v_lshrrev_b32_e32 v32, 5, v0                               // 0000000045FC: 20400085
	v_mul_i32_i24_e32 v6, 0x80, v32                            // 000000004600: 0C0C40FF 00000080
	v_and_b32_e32 v32, 31, v0                                  // 000000004608: 2640009F
	v_add_u32_e32 v6, v32, v6                                  // 00000000460C: 680C0D20
	s_mul_i32 s60, s46, 0x100                                  // 000000004610: 923CFF2E 00000100
	v_add_u32_e32 v6, s60, v6                                  // 000000004618: 680C0C3C
	v_lshlrev_b32_e32 v6, 2, v6                                // 00000000461C: 240C0C82
	v_add_u32_e32 v7, 0x100, v6                                // 000000004620: 680E0CFF 00000100
	v_add_u32_e32 v8, 0x1000, v6                               // 000000004628: 68100CFF 00001000
	v_add_u32_e32 v9, 0x1000, v7                               // 000000004630: 68120EFF 00001000
	s_mul_i32 s72, 64, s65                                     // 000000004638: 924841C0
	s_mul_hi_u32 s62, 64, s65                                  // 00000000463C: 963E41C0
	s_and_b32 s62, s62, 0xffff                                 // 000000004640: 863EFF3E 0000FFFF
	s_add_u32 s32, s72, s32                                    // 000000004648: 80202048
	s_addc_u32 s33, s62, s33                                   // 00000000464C: 8221213E
	s_mul_i32 s60, 64, s49                                     // 000000004650: 923C31C0
	s_mov_b32 s34, s60                                         // 000000004654: BEA2003C
	v_lshrrev_b32_e32 v6, 2, v6                                // 000000004658: 200C0C82
	v_lshrrev_b32_e32 v7, 2, v7                                // 00000000465C: 200E0E82
	v_lshrrev_b32_e32 v8, 2, v8                                // 000000004660: 20101082
	v_lshrrev_b32_e32 v9, 2, v9                                // 000000004664: 20121282
	s_mul_i32 s60, 3, s2                                       // 000000004668: 923C0283
	s_add_u32 s61, s50, 63                                     // 00000000466C: 803DBF32
	s_lshr_b32 s61, s61, 6                                     // 000000004670: 8F3D863D
	s_sub_i32 s73, s61, s60                                    // 000000004674: 81C93C3D
	s_cmp_lt_i32 s73, 3                                        // 000000004678: BF048349
	s_cselect_b32 s73, s73, 3                                  // 00000000467C: 85498349
	v_mov_b32_e32 v227, 0xffff0000                             // 000000004680: 7FC602FF FFFF0000
	v_mov_b32_e32 v228, 0x7fff0000                             // 000000004688: 7FC802FF 7FFF0000
	v_mov_b32_e32 v229, 0x7fff                                 // 000000004690: 7FCA02FF 00007FFF
	s_mul_i32 s60, 0xc0, s2                                    // 000000004698: 923C02FF 000000C0
	s_sub_i32 s97, s50, s60                                    // 0000000046A0: 81E13C32
	s_lshr_b32 s60, s46, 1                                     // 0000000046A4: 8F3C812E
	s_lshl_b32 s60, s60, 8                                     // 0000000046A8: 8E3C883C
	s_add_u32 s76, 0x9a00, s60                                 // 0000000046AC: 804C3CFF 00009A00
	s_add_u32 s77, 0x200, s76                                  // 0000000046B4: 804D4CFF 00000200
	s_mov_b32 m0, s76                                          // 0000000046BC: BEFC004C
	v_and_b32_e32 v32, 31, v0                                  // 0000000046C0: 2640009F
	v_lshrrev_b32_e32 v32, 1, v32                              // 0000000046C4: 20404081
	v_and_b32_e32 v33, 1, v32                                  // 0000000046C8: 26424081
	v_lshlrev_b32_e32 v33, 4, v33                              // 0000000046CC: 24424284
	v_and_b32_e32 v34, 2, v32                                  // 0000000046D0: 26444082
	v_lshlrev_b32_e32 v34, 2, v34                              // 0000000046D4: 24444482
	v_add_u32_e32 v33, v34, v33                                // 0000000046D8: 68424322
	v_and_b32_e32 v34, 12, v32                                 // 0000000046DC: 2644408C
	v_lshrrev_b32_e32 v34, 1, v34                              // 0000000046E0: 20444481
	v_add_u32_e32 v33, v34, v33                                // 0000000046E4: 68424322
	v_lshrrev_b32_e32 v32, 5, v0                               // 0000000046E8: 20400085
	v_mul_i32_i24_e32 v34, 0x80, v32                           // 0000000046EC: 0C4440FF 00000080
	v_add_u32_e32 v33, v34, v33                                // 0000000046F4: 68424322
	v_and_b32_e32 v34, 1, v0                                   // 0000000046F8: 26440081
	v_add_u32_e32 v13, v34, v33                                // 0000000046FC: 681A4322
	s_mul_i32 s60, s46, 32                                     // 000000004700: 923CA02E
	v_add_u32_e32 v13, s60, v13                                // 000000004704: 681A1A3C
	v_lshlrev_b32_e32 v13, 2, v13                              // 000000004708: 241A1A82
	v_lshrrev_b32_e32 v32, 4, v0                               // 00000000470C: 20400084
	v_and_b32_e32 v33, 1, v32                                  // 000000004710: 26424081
	v_lshlrev_b32_e32 v33, 4, v33                              // 000000004714: 24424284
	v_and_b32_e32 v34, 2, v32                                  // 000000004718: 26444082
	v_mul_i32_i24_e32 v34, 4, v34                              // 00000000471C: 0C444484
	v_add_u32_e32 v33, v34, v33                                // 000000004720: 68424322
	v_and_b32_e32 v32, 15, v0                                  // 000000004724: 2640008F
	v_lshrrev_b32_e32 v34, 2, v32                              // 000000004728: 20444082
	v_lshlrev_b32_e32 v34, 5, v34                              // 00000000472C: 24444485
	v_add_u32_e32 v33, v34, v33                                // 000000004730: 68424322
	v_and_b32_e32 v32, 3, v0                                   // 000000004734: 26400083
	v_and_b32_e32 v34, 1, v32                                  // 000000004738: 26444081
	v_mul_i32_i24_e32 v34, 0x108, v34                          // 00000000473C: 0C4444FF 00000108
	v_add_u32_e32 v33, v34, v33                                // 000000004744: 68424322
	v_and_b32_e32 v34, 2, v32                                  // 000000004748: 26444082
	v_lshlrev_b32_e32 v34, 1, v34                              // 00000000474C: 24444481
	v_add_u32_e32 v12, v34, v33                                // 000000004750: 68184322
	v_lshlrev_b32_e32 v12, 2, v12                              // 000000004754: 24181882
	s_mul_i32 s60, s46, 0x880                                  // 000000004758: 923CFF2E 00000880
	v_add_u32_e32 v24, s60, v12                                // 000000004760: 6830183C
	v_lshrrev_b32_e32 v32, 5, v0                               // 000000004764: 20400085
	v_mul_i32_i24_e32 v15, 0x80, v32                           // 000000004768: 0C1E40FF 00000080
	v_and_b32_e32 v32, 31, v0                                  // 000000004770: 2640009F
	v_and_b32_e32 v33, 7, v32                                  // 000000004774: 26424087
	v_and_b32_e32 v34, 1, v33                                  // 000000004778: 26444281
	v_lshlrev_b32_e32 v34, 2, v34                              // 00000000477C: 24444482
	v_add_u32_e32 v15, v34, v15                                // 000000004780: 681E1F22
	v_and_b32_e32 v34, 2, v33                                  // 000000004784: 26444282
	v_lshlrev_b32_e32 v34, 3, v34                              // 000000004788: 24444483
	v_add_u32_e32 v15, v34, v15                                // 00000000478C: 681E1F22
	v_and_b32_e32 v34, 4, v33                                  // 000000004790: 26444284
	v_lshlrev_b32_e32 v34, 1, v34                              // 000000004794: 24444481
	v_add_u32_e32 v15, v34, v15                                // 000000004798: 681E1F22
	v_lshrrev_b32_e32 v33, 3, v32                              // 00000000479C: 20424083
	v_and_b32_e32 v34, 1, v33                                  // 0000000047A0: 26444281
	v_lshlrev_b32_e32 v34, 1, v34                              // 0000000047A4: 24444481
	v_add_u32_e32 v15, v34, v15                                // 0000000047A8: 681E1F22
	v_and_b32_e32 v34, 2, v33                                  // 0000000047AC: 26444282
	v_lshrrev_b32_e32 v34, 1, v34                              // 0000000047B0: 20444481
	v_add_u32_e32 v15, v34, v15                                // 0000000047B4: 681E1F22
	s_mul_i32 s60, s46, 32                                     // 0000000047B8: 923CA02E
	v_add_u32_e32 v15, s60, v15                                // 0000000047BC: 681E1E3C
	v_lshlrev_b32_e32 v15, 2, v15                              // 0000000047C0: 241E1E82
	v_and_b32_e32 v32, 15, v0                                  // 0000000047C4: 2640008F
	v_and_b32_e32 v34, 1, v32                                  // 0000000047C8: 26444081
	v_mul_i32_i24_e32 v14, 0x108, v34                          // 0000000047CC: 0C1C44FF 00000108
	v_and_b32_e32 v34, 2, v32                                  // 0000000047D4: 26444082
	v_lshlrev_b32_e32 v34, 1, v34                              // 0000000047D8: 24444481
	v_add_u32_e32 v14, v34, v14                                // 0000000047DC: 681C1D22
	v_and_b32_e32 v34, 4, v32                                  // 0000000047E0: 26444084
	v_lshlrev_b32_e32 v34, 2, v34                              // 0000000047E4: 24444482
	v_add_u32_e32 v14, v34, v14                                // 0000000047E8: 681C1D22
	v_and_b32_e32 v34, 8, v32                                  // 0000000047EC: 26444088
	v_add_u32_e32 v14, v34, v14                                // 0000000047F0: 681C1D22
	v_lshrrev_b32_e32 v32, 4, v0                               // 0000000047F4: 20400084
	v_and_b32_e32 v34, 1, v32                                  // 0000000047F8: 26444081
	v_lshlrev_b32_e32 v34, 5, v34                              // 0000000047FC: 24444485
	v_add_u32_e32 v14, v34, v14                                // 000000004800: 681C1D22
	v_and_b32_e32 v33, 2, v32                                  // 000000004804: 26424082
	v_mul_i32_i24_e32 v34, 32, v33                             // 000000004808: 0C4442A0
	v_mul_i32_i24_e32 v33, 0x110, v33                          // 00000000480C: 0C4242FF 00000110
	v_add_u32_e32 v25, v33, v14                                // 000000004814: 68321D21
	v_add_u32_e32 v14, v34, v14                                // 000000004818: 681C1D22
	v_lshlrev_b32_e32 v14, 2, v14                              // 00000000481C: 241C1C82
	v_lshlrev_b32_e32 v25, 2, v25                              // 000000004820: 24323282
	s_and_b32 s60, 1, s46                                      // 000000004824: 863C2E81
	s_mul_i32 s60, s60, 0x200                                  // 000000004828: 923CFF3C 00000200
	v_add_u32_e32 v25, s60, v25                                // 000000004830: 6832323C
	v_lshrrev_b32_e32 v32, 4, v0                               // 000000004834: 20400084
	v_mul_i32_i24_e32 v23, 4, v32                              // 000000004838: 0C2E4084
	v_and_b32_e32 v33, 3, v0                                   // 00000000483C: 26420083
	v_add_u32_e32 v23, v33, v23                                // 000000004840: 682E2F21
	v_lshlrev_b32_e32 v23, 2, v23                              // 000000004844: 242E2E82
	v_lshrrev_b32_e32 v32, 4, v0                               // 000000004848: 20400084
	v_and_b32_e32 v33, 1, v32                                  // 00000000484C: 26424081
	v_mul_i32_i24_e32 v21, 0x100, v33                          // 000000004850: 0C2A42FF 00000100
	v_and_b32_e32 v33, 2, v32                                  // 000000004858: 26424082
	v_mul_i32_i24_e32 v33, 64, v33                             // 00000000485C: 0C4242C0
	v_add_u32_e32 v21, v33, v21                                // 000000004860: 682A2B21
	v_and_b32_e32 v32, 15, v0                                  // 000000004864: 2640008F
	v_mul_i32_i24_e32 v33, 2, v32                              // 000000004868: 0C424082
	v_add_u32_e32 v21, v33, v21                                // 00000000486C: 682A2B21
	s_mul_i32 s60, s46, 32                                     // 000000004870: 923CA02E
	v_add_u32_e32 v21, s60, v21                                // 000000004874: 682A2A3C
	v_lshlrev_b32_e32 v21, 2, v21                              // 000000004878: 242A2A82
	v_lshlrev_b32_e32 v22, 1, v0                               // 00000000487C: 242C0081
	s_mul_i32 s60, s46, 0x200                                  // 000000004880: 923CFF2E 00000200
	v_add_u32_e32 v22, s60, v22                                // 000000004888: 682C2C3C
	v_lshlrev_b32_e32 v22, 2, v22                              // 00000000488C: 242C2C82
	v_lshrrev_b32_e32 v32, 5, v0                               // 000000004890: 20400085
	v_mul_i32_i24_e32 v19, 64, v32                             // 000000004894: 0C2640C0
	v_and_b32_e32 v32, 31, v0                                  // 000000004898: 2640009F
	v_and_b32_e32 v32, 3, v32                                  // 00000000489C: 26404083
	v_and_b32_e32 v33, 1, v32                                  // 0000000048A0: 26424081
	v_mul_i32_i24_e32 v33, 4, v33                              // 0000000048A4: 0C424284
	v_add_u32_e32 v19, v33, v19                                // 0000000048A8: 68262721
	v_and_b32_e32 v33, 2, v32                                  // 0000000048AC: 26424082
	v_mul_i32_i24_e32 v33, 0x44, v33                           // 0000000048B0: 0C4242FF 00000044
	v_add_u32_e32 v19, v33, v19                                // 0000000048B8: 68262721
	v_and_b32_e32 v32, 31, v0                                  // 0000000048BC: 2640009F
	v_lshrrev_b32_e32 v32, 2, v32                              // 0000000048C0: 20404082
	v_lshrrev_b32_e32 v34, 2, v32                              // 0000000048C4: 20444082
	v_mul_i32_i24_e32 v33, 16, v34                             // 0000000048C8: 0C424490
	v_add_u32_e32 v19, v33, v19                                // 0000000048CC: 68262721
	v_and_b32_e32 v33, 2, v32                                  // 0000000048D0: 26424082
	v_lshlrev_b32_e32 v33, 4, v33                              // 0000000048D4: 24424284
	v_add_u32_e32 v19, v33, v19                                // 0000000048D8: 68262721
	v_and_b32_e32 v33, 1, v32                                  // 0000000048DC: 26424081
	v_xor_b32_e32 v33, v34, v33                                // 0000000048E0: 2A424322
	v_mul_i32_i24_e32 v33, 8, v33                              // 0000000048E4: 0C424288
	v_add_u32_e32 v19, v33, v19                                // 0000000048E8: 68262721
	s_lshr_b32 s60, s46, 1                                     // 0000000048EC: 8F3C812E
	s_mul_i32 s60, s60, 0x6c0                                  // 0000000048F0: 923CFF3C 000006C0
	v_add_u32_e32 v19, s60, v19                                // 0000000048F8: 6826263C
	v_lshlrev_b32_e32 v19, 2, v19                              // 0000000048FC: 24262682
	v_lshrrev_b32_e32 v32, 5, v0                               // 000000004900: 20400085
	v_mul_i32_i24_e32 v20, 32, v32                             // 000000004904: 0C2840A0
	v_and_b32_e32 v32, 31, v0                                  // 000000004908: 2640009F
	v_and_b32_e32 v32, 3, v32                                  // 00000000490C: 26404083
	v_and_b32_e32 v33, 1, v32                                  // 000000004910: 26424081
	v_mul_i32_i24_e32 v33, 4, v33                              // 000000004914: 0C424284
	v_add_u32_e32 v20, v33, v20                                // 000000004918: 68282921
	v_and_b32_e32 v33, 2, v32                                  // 00000000491C: 26424082
	v_lshrrev_b32_e32 v33, 1, v33                              // 000000004920: 20424281
	v_add_u32_e32 v20, v33, v20                                // 000000004924: 68282921
	v_and_b32_e32 v32, 31, v0                                  // 000000004928: 2640009F
	v_lshrrev_b32_e32 v32, 2, v32                              // 00000000492C: 20404082
	v_and_b32_e32 v34, 1, v32                                  // 000000004930: 26444081
	v_mul_i32_i24_e32 v33, 16, v34                             // 000000004934: 0C424490
	v_add_u32_e32 v20, v33, v20                                // 000000004938: 68282921
	v_and_b32_e32 v33, 2, v32                                  // 00000000493C: 26424082
	v_add_u32_e32 v20, v33, v20                                // 000000004940: 68282921
	v_lshrrev_b32_e32 v33, 2, v32                              // 000000004944: 20424082
	v_xor_b32_e32 v33, v34, v33                                // 000000004948: 2A424322
	v_mul_i32_i24_e32 v33, 8, v33                              // 00000000494C: 0C424288
	v_add_u32_e32 v20, v33, v20                                // 000000004950: 68282921
	s_and_b32 s60, 1, s46                                      // 000000004954: 863C2E81
	s_mul_i32 s60, s60, 64                                     // 000000004958: 923CC03C
	s_lshr_b32 s61, s46, 1                                     // 00000000495C: 8F3D812E
	s_mul_i32 s61, s61, 0x120                                  // 000000004960: 923DFF3D 00000120
	s_add_u32 s60, s60, s61                                    // 000000004968: 803C3D3C
	v_add_u32_e32 v20, s60, v20                                // 00000000496C: 6828283C
	v_lshlrev_b32_e32 v20, 2, v20                              // 000000004970: 24282882
	buffer_load_dword v178, v1, s[12:15], 0 idxen              // 000000004974: E0502000 8003B201
	buffer_load_dword v179, v2, s[12:15], 0 idxen              // 00000000497C: E0502000 8003B302
	s_mul_i32 s60, 4, s6                                       // 000000004984: 923C0684
	s_cmp_lt_i32 0, s73                                        // 000000004988: BF044980
	s_cselect_b32 s60, s60, 0                                  // 00000000498C: 853C803C
	v_add_u32_e32 v1, s60, v1                                  // 000000004990: 6802023C
	v_add_u32_e32 v2, s60, v2                                  // 000000004994: 6804043C
	buffer_load_dword v180, v1, s[12:15], 0 idxen              // 000000004998: E0502000 8003B401
	buffer_load_dword v181, v2, s[12:15], 0 idxen              // 0000000049A0: E0502000 8003B502
	s_mul_i32 s60, 4, s6                                       // 0000000049A8: 923C0684
	s_cmp_lt_i32 0, s73                                        // 0000000049AC: BF044980
	s_cselect_b32 s60, s60, 0                                  // 0000000049B0: 853C803C
	v_add_u32_e32 v1, s60, v1                                  // 0000000049B4: 6802023C
	v_add_u32_e32 v2, s60, v2                                  // 0000000049B8: 6804043C
	buffer_load_dword v182, v1, s[12:15], 0 idxen              // 0000000049BC: E0502000 8003B601
	buffer_load_dword v183, v2, s[12:15], 0 idxen              // 0000000049C4: E0502000 8003B702
	s_mul_i32 s60, 4, s6                                       // 0000000049CC: 923C0684
	s_cmp_lt_i32 0, s73                                        // 0000000049D0: BF044980
	s_cselect_b32 s60, s60, 0                                  // 0000000049D4: 853C803C
	v_add_u32_e32 v1, s60, v1                                  // 0000000049D8: 6802023C
	v_add_u32_e32 v2, s60, v2                                  // 0000000049DC: 6804043C
	buffer_load_dword v184, v1, s[12:15], 0 idxen              // 0000000049E0: E0502000 8003B801
	buffer_load_dword v185, v2, s[12:15], 0 idxen              // 0000000049E8: E0502000 8003B902
	s_mul_i32 s60, 4, s6                                       // 0000000049F0: 923C0684
	s_cmp_lt_i32 1, s73                                        // 0000000049F4: BF044981
	s_cselect_b32 s60, s60, 0                                  // 0000000049F8: 853C803C
	v_add_u32_e32 v1, s60, v1                                  // 0000000049FC: 6802023C
	v_add_u32_e32 v2, s60, v2                                  // 000000004A00: 6804043C
	buffer_load_dword v186, v1, s[12:15], 0 idxen              // 000000004A04: E0502000 8003BA01
	buffer_load_dword v187, v2, s[12:15], 0 idxen              // 000000004A0C: E0502000 8003BB02
	s_mul_i32 s60, 4, s6                                       // 000000004A14: 923C0684
	s_cmp_lt_i32 1, s73                                        // 000000004A18: BF044981
	s_cselect_b32 s60, s60, 0                                  // 000000004A1C: 853C803C
	v_add_u32_e32 v1, s60, v1                                  // 000000004A20: 6802023C
	v_add_u32_e32 v2, s60, v2                                  // 000000004A24: 6804043C
	buffer_load_dword v188, v1, s[12:15], 0 idxen              // 000000004A28: E0502000 8003BC01
	buffer_load_dword v189, v2, s[12:15], 0 idxen              // 000000004A30: E0502000 8003BD02
	s_mul_i32 s60, 4, s6                                       // 000000004A38: 923C0684
	s_cmp_lt_i32 1, s73                                        // 000000004A3C: BF044981
	s_cselect_b32 s60, s60, 0                                  // 000000004A40: 853C803C
	v_add_u32_e32 v1, s60, v1                                  // 000000004A44: 6802023C
	v_add_u32_e32 v2, s60, v2                                  // 000000004A48: 6804043C
	buffer_load_dword v190, v1, s[12:15], 0 idxen              // 000000004A4C: E0502000 8003BE01
	buffer_load_dword v191, v2, s[12:15], 0 idxen              // 000000004A54: E0502000 8003BF02
	s_mul_i32 s60, 4, s6                                       // 000000004A5C: 923C0684
	s_cmp_lt_i32 1, s73                                        // 000000004A60: BF044981
	s_cselect_b32 s60, s60, 0                                  // 000000004A64: 853C803C
	v_add_u32_e32 v1, s60, v1                                  // 000000004A68: 6802023C
	v_add_u32_e32 v2, s60, v2                                  // 000000004A6C: 6804043C
	buffer_load_dword v192, v1, s[12:15], 0 idxen              // 000000004A70: E0502000 8003C001
	buffer_load_dword v193, v2, s[12:15], 0 idxen              // 000000004A78: E0502000 8003C102
	s_mul_i32 s60, 4, s6                                       // 000000004A80: 923C0684
	s_cmp_lt_i32 2, s73                                        // 000000004A84: BF044982
	s_cselect_b32 s60, s60, 0                                  // 000000004A88: 853C803C
	v_add_u32_e32 v1, s60, v1                                  // 000000004A8C: 6802023C
	v_add_u32_e32 v2, s60, v2                                  // 000000004A90: 6804043C
	buffer_load_dword v194, v1, s[12:15], 0 idxen              // 000000004A94: E0502000 8003C201
	buffer_load_dword v195, v2, s[12:15], 0 idxen              // 000000004A9C: E0502000 8003C302
	s_mul_i32 s60, 4, s6                                       // 000000004AA4: 923C0684
	s_cmp_lt_i32 2, s73                                        // 000000004AA8: BF044982
	s_cselect_b32 s60, s60, 0                                  // 000000004AAC: 853C803C
	v_add_u32_e32 v1, s60, v1                                  // 000000004AB0: 6802023C
	v_add_u32_e32 v2, s60, v2                                  // 000000004AB4: 6804043C
	buffer_load_dword v196, v1, s[12:15], 0 idxen              // 000000004AB8: E0502000 8003C401
	buffer_load_dword v197, v2, s[12:15], 0 idxen              // 000000004AC0: E0502000 8003C502
	s_mul_i32 s60, 4, s6                                       // 000000004AC8: 923C0684
	s_cmp_lt_i32 2, s73                                        // 000000004ACC: BF044982
	s_cselect_b32 s60, s60, 0                                  // 000000004AD0: 853C803C
	v_add_u32_e32 v1, s60, v1                                  // 000000004AD4: 6802023C
	v_add_u32_e32 v2, s60, v2                                  // 000000004AD8: 6804043C
	buffer_load_dword v198, v1, s[12:15], 0 idxen              // 000000004ADC: E0502000 8003C601
	buffer_load_dword v199, v2, s[12:15], 0 idxen              // 000000004AE4: E0502000 8003C702
	s_mul_i32 s60, 4, s6                                       // 000000004AEC: 923C0684
	s_cmp_lt_i32 2, s73                                        // 000000004AF0: BF044982
	s_cselect_b32 s60, s60, 0                                  // 000000004AF4: 853C803C
	v_add_u32_e32 v1, s60, v1                                  // 000000004AF8: 6802023C
	v_add_u32_e32 v2, s60, v2                                  // 000000004AFC: 6804043C
	buffer_load_dword v200, v1, s[12:15], 0 idxen              // 000000004B00: E0502000 8003C801
	buffer_load_dword v201, v2, s[12:15], 0 idxen              // 000000004B08: E0502000 8003C902
	s_mul_i32 s60, 4, s6                                       // 000000004B10: 923C0684
	s_cmp_lt_i32 3, s73                                        // 000000004B14: BF044983
	s_cselect_b32 s60, s60, 0                                  // 000000004B18: 853C803C
	v_add_u32_e32 v1, s60, v1                                  // 000000004B1C: 6802023C
	v_add_u32_e32 v2, s60, v2                                  // 000000004B20: 6804043C
	s_waitcnt vmcnt(16) lgkmcnt(0)                             // 000000004B24: BF8C4070
	s_barrier                                                  // 000000004B28: BF8A0000
	s_cmp_lt_i32 0, s73                                        // 000000004B2C: BF044980
	s_cbranch_scc1 label_02D5                                  // 000000004B30: BF850008
	v_mov_b32_e32 v178, 0                                      // 000000004B34: 7F640280
	v_mov_b32_e32 v179, 0                                      // 000000004B38: 7F660280
	v_mov_b32_e32 v180, 0                                      // 000000004B3C: 7F680280
	v_mov_b32_e32 v181, 0                                      // 000000004B40: 7F6A0280
	v_mov_b32_e32 v182, 0                                      // 000000004B44: 7F6C0280
	v_mov_b32_e32 v183, 0                                      // 000000004B48: 7F6E0280
	v_mov_b32_e32 v184, 0                                      // 000000004B4C: 7F700280
	v_mov_b32_e32 v185, 0                                      // 000000004B50: 7F720280

0000000000004b54 <label_02D5>:
	v_perm_b32 v202, v179, v178, s63                           // 000000004B54: D1ED00CA 00FF65B3
	v_perm_b32 v203, v179, v178, s64                           // 000000004B5C: D1ED00CB 010365B3
	v_perm_b32 v204, v181, v180, s63                           // 000000004B64: D1ED00CC 00FF69B5
	v_perm_b32 v205, v181, v180, s64                           // 000000004B6C: D1ED00CD 010369B5
	v_perm_b32 v206, v183, v182, s63                           // 000000004B74: D1ED00CE 00FF6DB7
	v_perm_b32 v207, v183, v182, s64                           // 000000004B7C: D1ED00CF 01036DB7
	v_perm_b32 v208, v185, v184, s63                           // 000000004B84: D1ED00D0 00FF71B9
	v_perm_b32 v209, v185, v184, s64                           // 000000004B8C: D1ED00D1 010371B9
	ds_write_b32 v15, v202 offset:8704                         // 000000004B94: D81A2200 0000CA0F
	ds_write_b32 v15, v203 offset:9760                         // 000000004B9C: D81A2620 0000CB0F
	ds_write_b32 v15, v204 offset:10880                        // 000000004BA4: D81A2A80 0000CC0F
	ds_write_b32 v15, v205 offset:11936                        // 000000004BAC: D81A2EA0 0000CD0F
	ds_write_b32 v15, v206 offset:13056                        // 000000004BB4: D81A3300 0000CE0F
	ds_write_b32 v15, v207 offset:14112                        // 000000004BBC: D81A3720 0000CF0F
	ds_write_b32 v15, v208 offset:15232                        // 000000004BC4: D81A3B80 0000D00F
	ds_write_b32 v15, v209 offset:16288                        // 000000004BCC: D81A3FA0 0000D10F
	ds_write_b32 v13, v178                                     // 000000004BD4: D81A0000 0000B20D
	ds_write_b32 v13, v179 offset:1056                         // 000000004BDC: D81A0420 0000B30D
	ds_write_b32 v13, v180 offset:2176                         // 000000004BE4: D81A0880 0000B40D
	ds_write_b32 v13, v181 offset:3232                         // 000000004BEC: D81A0CA0 0000B50D
	ds_write_b32 v13, v182 offset:4352                         // 000000004BF4: D81A1100 0000B60D
	ds_write_b32 v13, v183 offset:5408                         // 000000004BFC: D81A1520 0000B70D
	ds_write_b32 v13, v184 offset:6528                         // 000000004C04: D81A1980 0000B80D
	ds_write_b32 v13, v185 offset:7584                         // 000000004C0C: D81A1DA0 0000B90D
	buffer_load_dword v178, v231, s[16:19], 0 idxen            // 000000004C14: E0502000 8004B2E7
	buffer_load_dword v179, v232, s[16:19], 0 idxen            // 000000004C1C: E0502000 8004B3E8
	s_mul_i32 s60, 4, s7                                       // 000000004C24: 923C0784
	s_cmp_lt_i32 0, s73                                        // 000000004C28: BF044980
	s_cselect_b32 s60, s60, 0                                  // 000000004C2C: 853C803C
	v_add_u32_e32 v231, s60, v231                              // 000000004C30: 69CFCE3C
	v_add_u32_e32 v232, s60, v232                              // 000000004C34: 69D1D03C
	buffer_load_dword v180, v231, s[16:19], 0 idxen            // 000000004C38: E0502000 8004B4E7
	buffer_load_dword v181, v232, s[16:19], 0 idxen            // 000000004C40: E0502000 8004B5E8
	s_mul_i32 s60, 4, s7                                       // 000000004C48: 923C0784
	s_cmp_lt_i32 0, s73                                        // 000000004C4C: BF044980
	s_cselect_b32 s60, s60, 0                                  // 000000004C50: 853C803C
	v_add_u32_e32 v231, s60, v231                              // 000000004C54: 69CFCE3C
	v_add_u32_e32 v232, s60, v232                              // 000000004C58: 69D1D03C
	buffer_load_dword v182, v231, s[16:19], 0 idxen            // 000000004C5C: E0502000 8004B6E7
	buffer_load_dword v183, v232, s[16:19], 0 idxen            // 000000004C64: E0502000 8004B7E8
	s_mul_i32 s60, 4, s7                                       // 000000004C6C: 923C0784
	s_cmp_lt_i32 0, s73                                        // 000000004C70: BF044980
	s_cselect_b32 s60, s60, 0                                  // 000000004C74: 853C803C
	v_add_u32_e32 v231, s60, v231                              // 000000004C78: 69CFCE3C
	v_add_u32_e32 v232, s60, v232                              // 000000004C7C: 69D1D03C
	buffer_load_dword v184, v231, s[16:19], 0 idxen            // 000000004C80: E0502000 8004B8E7
	buffer_load_dword v185, v232, s[16:19], 0 idxen            // 000000004C88: E0502000 8004B9E8
	s_mul_i32 s60, 4, s7                                       // 000000004C90: 923C0784
	s_cmp_lt_i32 1, s73                                        // 000000004C94: BF044981
	s_cselect_b32 s60, s60, 0                                  // 000000004C98: 853C803C
	v_add_u32_e32 v231, s60, v231                              // 000000004C9C: 69CFCE3C
	v_add_u32_e32 v232, s60, v232                              // 000000004CA0: 69D1D03C
	s_waitcnt lgkmcnt(0)                                       // 000000004CA4: BF8CC07F
	s_barrier                                                  // 000000004CA8: BF8A0000
	ds_read_b128 a[24:27], v25 offset:8704                     // 000000004CAC: DBFE2200 18000019
	ds_read_b128 a[28:31], v25 offset:8960                     // 000000004CB4: DBFE2300 1C000019
	ds_read_b128 a[32:35], v25 offset:13056                    // 000000004CBC: DBFE3300 20000019
	ds_read_b128 a[36:39], v25 offset:13312                    // 000000004CC4: DBFE3400 24000019
	ds_read_b128 a[0:3], v24                                   // 000000004CCC: DBFE0000 00000018
	ds_read_b128 a[4:7], v24 offset:512                        // 000000004CD4: DBFE0200 04000018
	s_waitcnt vmcnt(16) lgkmcnt(0)                             // 000000004CDC: BF8C4070
	s_barrier                                                  // 000000004CE0: BF8A0000
	s_cmp_lt_i32 1, s73                                        // 000000004CE4: BF044981
	s_cbranch_scc1 label_0343                                  // 000000004CE8: BF850008
	v_mov_b32_e32 v186, 0                                      // 000000004CEC: 7F740280
	v_mov_b32_e32 v187, 0                                      // 000000004CF0: 7F760280
	v_mov_b32_e32 v188, 0                                      // 000000004CF4: 7F780280
	v_mov_b32_e32 v189, 0                                      // 000000004CF8: 7F7A0280
	v_mov_b32_e32 v190, 0                                      // 000000004CFC: 7F7C0280
	v_mov_b32_e32 v191, 0                                      // 000000004D00: 7F7E0280
	v_mov_b32_e32 v192, 0                                      // 000000004D04: 7F800280
	v_mov_b32_e32 v193, 0                                      // 000000004D08: 7F820280

0000000000004d0c <label_0343>:
	v_perm_b32 v202, v187, v186, s63                           // 000000004D0C: D1ED00CA 00FF75BB
	v_perm_b32 v203, v187, v186, s64                           // 000000004D14: D1ED00CB 010375BB
	v_perm_b32 v204, v189, v188, s63                           // 000000004D1C: D1ED00CC 00FF79BD
	v_perm_b32 v205, v189, v188, s64                           // 000000004D24: D1ED00CD 010379BD
	v_perm_b32 v206, v191, v190, s63                           // 000000004D2C: D1ED00CE 00FF7DBF
	v_perm_b32 v207, v191, v190, s64                           // 000000004D34: D1ED00CF 01037DBF
	v_perm_b32 v208, v193, v192, s63                           // 000000004D3C: D1ED00D0 00FF81C1
	v_perm_b32 v209, v193, v192, s64                           // 000000004D44: D1ED00D1 010381C1
	ds_write_b32 v15, v202 offset:8704                         // 000000004D4C: D81A2200 0000CA0F
	ds_write_b32 v15, v203 offset:9760                         // 000000004D54: D81A2620 0000CB0F
	ds_write_b32 v15, v204 offset:10880                        // 000000004D5C: D81A2A80 0000CC0F
	ds_write_b32 v15, v205 offset:11936                        // 000000004D64: D81A2EA0 0000CD0F
	ds_write_b32 v15, v206 offset:13056                        // 000000004D6C: D81A3300 0000CE0F
	ds_write_b32 v15, v207 offset:14112                        // 000000004D74: D81A3720 0000CF0F
	ds_write_b32 v15, v208 offset:15232                        // 000000004D7C: D81A3B80 0000D00F
	ds_write_b32 v15, v209 offset:16288                        // 000000004D84: D81A3FA0 0000D10F
	ds_write_b32 v13, v186                                     // 000000004D8C: D81A0000 0000BA0D
	ds_write_b32 v13, v187 offset:1056                         // 000000004D94: D81A0420 0000BB0D
	ds_write_b32 v13, v188 offset:2176                         // 000000004D9C: D81A0880 0000BC0D
	ds_write_b32 v13, v189 offset:3232                         // 000000004DA4: D81A0CA0 0000BD0D
	ds_write_b32 v13, v190 offset:4352                         // 000000004DAC: D81A1100 0000BE0D
	ds_write_b32 v13, v191 offset:5408                         // 000000004DB4: D81A1520 0000BF0D
	ds_write_b32 v13, v192 offset:6528                         // 000000004DBC: D81A1980 0000C00D
	ds_write_b32 v13, v193 offset:7584                         // 000000004DC4: D81A1DA0 0000C10D
	buffer_load_dword v186, v231, s[16:19], 0 idxen            // 000000004DCC: E0502000 8004BAE7
	buffer_load_dword v187, v232, s[16:19], 0 idxen            // 000000004DD4: E0502000 8004BBE8
	s_mul_i32 s60, 4, s7                                       // 000000004DDC: 923C0784
	s_cmp_lt_i32 1, s73                                        // 000000004DE0: BF044981
	s_cselect_b32 s60, s60, 0                                  // 000000004DE4: 853C803C
	v_add_u32_e32 v231, s60, v231                              // 000000004DE8: 69CFCE3C
	v_add_u32_e32 v232, s60, v232                              // 000000004DEC: 69D1D03C
	buffer_load_dword v188, v231, s[16:19], 0 idxen            // 000000004DF0: E0502000 8004BCE7
	buffer_load_dword v189, v232, s[16:19], 0 idxen            // 000000004DF8: E0502000 8004BDE8
	s_mul_i32 s60, 4, s7                                       // 000000004E00: 923C0784
	s_cmp_lt_i32 1, s73                                        // 000000004E04: BF044981
	s_cselect_b32 s60, s60, 0                                  // 000000004E08: 853C803C
	v_add_u32_e32 v231, s60, v231                              // 000000004E0C: 69CFCE3C
	v_add_u32_e32 v232, s60, v232                              // 000000004E10: 69D1D03C
	buffer_load_dword v190, v231, s[16:19], 0 idxen            // 000000004E14: E0502000 8004BEE7
	buffer_load_dword v191, v232, s[16:19], 0 idxen            // 000000004E1C: E0502000 8004BFE8
	s_mul_i32 s60, 4, s7                                       // 000000004E24: 923C0784
	s_cmp_lt_i32 1, s73                                        // 000000004E28: BF044981
	s_cselect_b32 s60, s60, 0                                  // 000000004E2C: 853C803C
	v_add_u32_e32 v231, s60, v231                              // 000000004E30: 69CFCE3C
	v_add_u32_e32 v232, s60, v232                              // 000000004E34: 69D1D03C
	buffer_load_dword v192, v231, s[16:19], 0 idxen            // 000000004E38: E0502000 8004C0E7
	buffer_load_dword v193, v232, s[16:19], 0 idxen            // 000000004E40: E0502000 8004C1E8
	s_mul_i32 s60, 4, s7                                       // 000000004E48: 923C0784
	s_cmp_lt_i32 2, s73                                        // 000000004E4C: BF044982
	s_cselect_b32 s60, s60, 0                                  // 000000004E50: 853C803C
	v_add_u32_e32 v231, s60, v231                              // 000000004E54: 69CFCE3C
	v_add_u32_e32 v232, s60, v232                              // 000000004E58: 69D1D03C
	s_waitcnt lgkmcnt(0)                                       // 000000004E5C: BF8CC07F
	s_barrier                                                  // 000000004E60: BF8A0000
	ds_read_b128 a[40:43], v25 offset:8704                     // 000000004E64: DBFE2200 28000019
	ds_read_b128 a[44:47], v25 offset:8960                     // 000000004E6C: DBFE2300 2C000019
	ds_read_b128 a[48:51], v25 offset:13056                    // 000000004E74: DBFE3300 30000019
	ds_read_b128 a[52:55], v25 offset:13312                    // 000000004E7C: DBFE3400 34000019
	ds_read_b128 a[8:11], v24                                  // 000000004E84: DBFE0000 08000018
	ds_read_b128 a[12:15], v24 offset:512                      // 000000004E8C: DBFE0200 0C000018
	s_waitcnt vmcnt(16) lgkmcnt(0)                             // 000000004E94: BF8C4070
	s_barrier                                                  // 000000004E98: BF8A0000
	s_cmp_lt_i32 2, s73                                        // 000000004E9C: BF044982
	s_cbranch_scc1 label_03B1                                  // 000000004EA0: BF850008
	v_mov_b32_e32 v194, 0                                      // 000000004EA4: 7F840280
	v_mov_b32_e32 v195, 0                                      // 000000004EA8: 7F860280
	v_mov_b32_e32 v196, 0                                      // 000000004EAC: 7F880280
	v_mov_b32_e32 v197, 0                                      // 000000004EB0: 7F8A0280
	v_mov_b32_e32 v198, 0                                      // 000000004EB4: 7F8C0280
	v_mov_b32_e32 v199, 0                                      // 000000004EB8: 7F8E0280
	v_mov_b32_e32 v200, 0                                      // 000000004EBC: 7F900280
	v_mov_b32_e32 v201, 0                                      // 000000004EC0: 7F920280

0000000000004ec4 <label_03B1>:
	v_perm_b32 v202, v195, v194, s63                           // 000000004EC4: D1ED00CA 00FF85C3
	v_perm_b32 v203, v195, v194, s64                           // 000000004ECC: D1ED00CB 010385C3
	v_perm_b32 v204, v197, v196, s63                           // 000000004ED4: D1ED00CC 00FF89C5
	v_perm_b32 v205, v197, v196, s64                           // 000000004EDC: D1ED00CD 010389C5
	v_perm_b32 v206, v199, v198, s63                           // 000000004EE4: D1ED00CE 00FF8DC7
	v_perm_b32 v207, v199, v198, s64                           // 000000004EEC: D1ED00CF 01038DC7
	v_perm_b32 v208, v201, v200, s63                           // 000000004EF4: D1ED00D0 00FF91C9
	v_perm_b32 v209, v201, v200, s64                           // 000000004EFC: D1ED00D1 010391C9
	ds_write_b32 v15, v202 offset:8704                         // 000000004F04: D81A2200 0000CA0F
	ds_write_b32 v15, v203 offset:9760                         // 000000004F0C: D81A2620 0000CB0F
	ds_write_b32 v15, v204 offset:10880                        // 000000004F14: D81A2A80 0000CC0F
	ds_write_b32 v15, v205 offset:11936                        // 000000004F1C: D81A2EA0 0000CD0F
	ds_write_b32 v15, v206 offset:13056                        // 000000004F24: D81A3300 0000CE0F
	ds_write_b32 v15, v207 offset:14112                        // 000000004F2C: D81A3720 0000CF0F
	ds_write_b32 v15, v208 offset:15232                        // 000000004F34: D81A3B80 0000D00F
	ds_write_b32 v15, v209 offset:16288                        // 000000004F3C: D81A3FA0 0000D10F
	ds_write_b32 v13, v194                                     // 000000004F44: D81A0000 0000C20D
	ds_write_b32 v13, v195 offset:1056                         // 000000004F4C: D81A0420 0000C30D
	ds_write_b32 v13, v196 offset:2176                         // 000000004F54: D81A0880 0000C40D
	ds_write_b32 v13, v197 offset:3232                         // 000000004F5C: D81A0CA0 0000C50D
	ds_write_b32 v13, v198 offset:4352                         // 000000004F64: D81A1100 0000C60D
	ds_write_b32 v13, v199 offset:5408                         // 000000004F6C: D81A1520 0000C70D
	ds_write_b32 v13, v200 offset:6528                         // 000000004F74: D81A1980 0000C80D
	ds_write_b32 v13, v201 offset:7584                         // 000000004F7C: D81A1DA0 0000C90D
	buffer_load_dword v194, v231, s[16:19], 0 idxen            // 000000004F84: E0502000 8004C2E7
	buffer_load_dword v195, v232, s[16:19], 0 idxen            // 000000004F8C: E0502000 8004C3E8
	s_mul_i32 s60, 4, s7                                       // 000000004F94: 923C0784
	s_cmp_lt_i32 2, s73                                        // 000000004F98: BF044982
	s_cselect_b32 s60, s60, 0                                  // 000000004F9C: 853C803C
	v_add_u32_e32 v231, s60, v231                              // 000000004FA0: 69CFCE3C
	v_add_u32_e32 v232, s60, v232                              // 000000004FA4: 69D1D03C
	buffer_load_dword v196, v231, s[16:19], 0 idxen            // 000000004FA8: E0502000 8004C4E7
	buffer_load_dword v197, v232, s[16:19], 0 idxen            // 000000004FB0: E0502000 8004C5E8
	s_mul_i32 s60, 4, s7                                       // 000000004FB8: 923C0784
	s_cmp_lt_i32 2, s73                                        // 000000004FBC: BF044982
	s_cselect_b32 s60, s60, 0                                  // 000000004FC0: 853C803C
	v_add_u32_e32 v231, s60, v231                              // 000000004FC4: 69CFCE3C
	v_add_u32_e32 v232, s60, v232                              // 000000004FC8: 69D1D03C
	buffer_load_dword v198, v231, s[16:19], 0 idxen            // 000000004FCC: E0502000 8004C6E7
	buffer_load_dword v199, v232, s[16:19], 0 idxen            // 000000004FD4: E0502000 8004C7E8
	s_mul_i32 s60, 4, s7                                       // 000000004FDC: 923C0784
	s_cmp_lt_i32 2, s73                                        // 000000004FE0: BF044982
	s_cselect_b32 s60, s60, 0                                  // 000000004FE4: 853C803C
	v_add_u32_e32 v231, s60, v231                              // 000000004FE8: 69CFCE3C
	v_add_u32_e32 v232, s60, v232                              // 000000004FEC: 69D1D03C
	buffer_load_dword v200, v231, s[16:19], 0 idxen            // 000000004FF0: E0502000 8004C8E7
	buffer_load_dword v201, v232, s[16:19], 0 idxen            // 000000004FF8: E0502000 8004C9E8
	s_mul_i32 s60, 4, s7                                       // 000000005000: 923C0784
	s_cmp_lt_i32 3, s73                                        // 000000005004: BF044983
	s_cselect_b32 s60, s60, 0                                  // 000000005008: 853C803C
	v_add_u32_e32 v231, s60, v231                              // 00000000500C: 69CFCE3C
	v_add_u32_e32 v232, s60, v232                              // 000000005010: 69D1D03C
	s_waitcnt lgkmcnt(0)                                       // 000000005014: BF8CC07F
	s_barrier                                                  // 000000005018: BF8A0000
	ds_read_b128 a[56:59], v25 offset:8704                     // 00000000501C: DBFE2200 38000019
	ds_read_b128 a[60:63], v25 offset:8960                     // 000000005024: DBFE2300 3C000019
	ds_read_b128 a[64:67], v25 offset:13056                    // 00000000502C: DBFE3300 40000019
	ds_read_b128 a[68:71], v25 offset:13312                    // 000000005034: DBFE3400 44000019
	ds_read_b128 a[16:19], v24                                 // 00000000503C: DBFE0000 10000018
	ds_read_b128 a[20:23], v24 offset:512                      // 000000005044: DBFE0200 14000018
	s_waitcnt vmcnt(16) lgkmcnt(0)                             // 00000000504C: BF8C4070
	s_barrier                                                  // 000000005050: BF8A0000
	s_cmp_lt_i32 0, s73                                        // 000000005054: BF044980
	s_cbranch_scc1 label_041F                                  // 000000005058: BF850008
	v_mov_b32_e32 v178, 0                                      // 00000000505C: 7F640280
	v_mov_b32_e32 v179, 0                                      // 000000005060: 7F660280
	v_mov_b32_e32 v180, 0                                      // 000000005064: 7F680280
	v_mov_b32_e32 v181, 0                                      // 000000005068: 7F6A0280
	v_mov_b32_e32 v182, 0                                      // 00000000506C: 7F6C0280
	v_mov_b32_e32 v183, 0                                      // 000000005070: 7F6E0280
	v_mov_b32_e32 v184, 0                                      // 000000005074: 7F700280
	v_mov_b32_e32 v185, 0                                      // 000000005078: 7F720280

000000000000507c <label_041F>:
	ds_write_b32 v13, v178                                     // 00000000507C: D81A0000 0000B20D
	ds_write_b32 v13, v179 offset:1056                         // 000000005084: D81A0420 0000B30D
	ds_write_b32 v13, v180 offset:2176                         // 00000000508C: D81A0880 0000B40D
	ds_write_b32 v13, v181 offset:3232                         // 000000005094: D81A0CA0 0000B50D
	ds_write_b32 v13, v182 offset:4352                         // 00000000509C: D81A1100 0000B60D
	ds_write_b32 v13, v183 offset:5408                         // 0000000050A4: D81A1520 0000B70D
	ds_write_b32 v13, v184 offset:6528                         // 0000000050AC: D81A1980 0000B80D
	ds_write_b32 v13, v185 offset:7584                         // 0000000050B4: D81A1DA0 0000B90D
	s_mov_b32 s71, s5                                          // 0000000050BC: BEC70005
	v_lshrrev_b32_e32 v32, 4, v0                               // 0000000050C0: 20400084
	v_and_b32_e32 v33, 1, v32                                  // 0000000050C4: 26424081
	v_lshlrev_b32_e32 v33, 1, v33                              // 0000000050C8: 24424281
	v_mul_i32_i24_e32 v33, s71, v33                            // 0000000050CC: 0C424247
	v_and_b32_e32 v34, 2, v32                                  // 0000000050D0: 26444082
	v_lshlrev_b32_e32 v34, 5, v34                              // 0000000050D4: 24444485
	v_add_u32_e32 v33, v34, v33                                // 0000000050D8: 68424322
	v_and_b32_e32 v32, 15, v0                                  // 0000000050DC: 2640008F
	v_lshlrev_b32_e32 v32, 2, v32                              // 0000000050E0: 24404082
	v_add_u32_e32 v1, v32, v33                                 // 0000000050E4: 68024320
	s_mul_i32 s60, s46, s71                                    // 0000000050E8: 923C472E
	s_mul_i32 s60, s60, 4                                      // 0000000050EC: 923C843C
	v_add_u32_e32 v1, s60, v1                                  // 0000000050F0: 6802023C
	v_add_u32_e32 v2, s71, v1                                  // 0000000050F4: 68040247
	s_mul_i32 s60, 16, s71                                     // 0000000050F8: 923C4790
	v_add_u32_e32 v3, s60, v1                                  // 0000000050FC: 6806023C
	v_add_u32_e32 v4, s60, v2                                  // 000000005100: 6808043C
	s_mov_b32 s71, s51                                         // 000000005104: BEC70033
	v_lshrrev_b32_e32 v32, 4, v0                               // 000000005108: 20400084
	v_and_b32_e32 v33, 1, v32                                  // 00000000510C: 26424081
	v_lshlrev_b32_e32 v33, 1, v33                              // 000000005110: 24424281
	v_mul_i32_i24_e32 v33, s71, v33                            // 000000005114: 0C424247
	v_and_b32_e32 v34, 2, v32                                  // 000000005118: 26444082
	v_lshlrev_b32_e32 v34, 5, v34                              // 00000000511C: 24444485
	v_add_u32_e32 v33, v34, v33                                // 000000005120: 68424322
	v_and_b32_e32 v32, 15, v0                                  // 000000005124: 2640008F
	v_lshlrev_b32_e32 v32, 2, v32                              // 000000005128: 24404082
	v_add_u32_e32 v231, v32, v33                               // 00000000512C: 69CE4320
	s_mul_i32 s60, s46, s71                                    // 000000005130: 923C472E
	s_mul_i32 s60, s60, 4                                      // 000000005134: 923C843C
	v_add_u32_e32 v231, s60, v231                              // 000000005138: 69CFCE3C
	v_add_u32_e32 v232, s71, v231                              // 00000000513C: 69D1CE47
	s_mul_i32 s60, 16, s71                                     // 000000005140: 923C4790
	v_add_u32_e32 v233, s60, v231                              // 000000005144: 69D3CE3C
	v_add_u32_e32 v234, s60, v232                              // 000000005148: 69D5D03C
	v_lshrrev_b32_e32 v1, 2, v1                                // 00000000514C: 20020282
	v_lshrrev_b32_e32 v2, 2, v2                                // 000000005150: 20040482
	v_lshrrev_b32_e32 v3, 2, v3                                // 000000005154: 20060682
	;; [unrolled: 1-line block ×3, first 2 shown]
	v_lshrrev_b32_e32 v231, 2, v231                            // 00000000515C: 21CFCE82
	v_lshrrev_b32_e32 v232, 2, v232                            // 000000005160: 21D1D082
	v_lshrrev_b32_e32 v233, 2, v233                            // 000000005164: 21D3D282
	v_lshrrev_b32_e32 v234, 2, v234                            // 000000005168: 21D5D482
	buffer_load_dword v36, v1, s[8:11], 0 idxen                // 00000000516C: E0502000 80022401
	buffer_load_dword v37, v2, s[8:11], 0 idxen                // 000000005174: E0502000 80022502
	buffer_load_dword v38, v3, s[8:11], 0 idxen                // 00000000517C: E0502000 80022603
	buffer_load_dword v39, v4, s[8:11], 0 idxen                // 000000005184: E0502000 80022704
	buffer_load_dword v44, v231, s[20:23], 0 idxen             // 00000000518C: E0502000 80052CE7
	buffer_load_dword v45, v232, s[20:23], 0 idxen             // 000000005194: E0502000 80052DE8
	buffer_load_dword v46, v233, s[20:23], 0 idxen             // 00000000519C: E0502000 80052EE9
	buffer_load_dword v47, v234, s[20:23], 0 idxen             // 0000000051A4: E0502000 80052FEA
	s_waitcnt lgkmcnt(0)                                       // 0000000051AC: BF8CC07F
	s_barrier                                                  // 0000000051B0: BF8A0000
	ds_read_b128 a[72:75], v24                                 // 0000000051B4: DBFE0000 48000018
	ds_read_b128 a[76:79], v24 offset:512                      // 0000000051BC: DBFE0200 4C000018
	v_add_u32_e32 v1, s68, v1                                  // 0000000051C4: 68020244
	v_add_u32_e32 v2, s68, v2                                  // 0000000051C8: 68040444
	v_add_u32_e32 v3, s68, v3                                  // 0000000051CC: 68060644
	v_add_u32_e32 v4, s68, v4                                  // 0000000051D0: 68080844
	v_add_u32_e32 v231, s95, v231                              // 0000000051D4: 69CFCE5F
	v_add_u32_e32 v232, s95, v232                              // 0000000051D8: 69D1D05F
	v_add_u32_e32 v233, s95, v233                              // 0000000051DC: 69D3D25F
	v_add_u32_e32 v234, s95, v234                              // 0000000051E0: 69D5D45F
	s_waitcnt vmcnt(16) lgkmcnt(0)                             // 0000000051E4: BF8C4070
	s_barrier                                                  // 0000000051E8: BF8A0000
	s_cmp_lt_i32 1, s73                                        // 0000000051EC: BF044981
	s_cbranch_scc1 label_0485                                  // 0000000051F0: BF850008
	v_mov_b32_e32 v186, 0                                      // 0000000051F4: 7F740280
	v_mov_b32_e32 v187, 0                                      // 0000000051F8: 7F760280
	v_mov_b32_e32 v188, 0                                      // 0000000051FC: 7F780280
	v_mov_b32_e32 v189, 0                                      // 000000005200: 7F7A0280
	v_mov_b32_e32 v190, 0                                      // 000000005204: 7F7C0280
	v_mov_b32_e32 v191, 0                                      // 000000005208: 7F7E0280
	v_mov_b32_e32 v192, 0                                      // 00000000520C: 7F800280
	v_mov_b32_e32 v193, 0                                      // 000000005210: 7F820280

0000000000005214 <label_0485>:
	ds_write_b32 v13, v186                                     // 000000005214: D81A0000 0000BA0D
	ds_write_b32 v13, v187 offset:1056                         // 00000000521C: D81A0420 0000BB0D
	ds_write_b32 v13, v188 offset:2176                         // 000000005224: D81A0880 0000BC0D
	ds_write_b32 v13, v189 offset:3232                         // 00000000522C: D81A0CA0 0000BD0D
	ds_write_b32 v13, v190 offset:4352                         // 000000005234: D81A1100 0000BE0D
	ds_write_b32 v13, v191 offset:5408                         // 00000000523C: D81A1520 0000BF0D
	ds_write_b32 v13, v192 offset:6528                         // 000000005244: D81A1980 0000C00D
	ds_write_b32 v13, v193 offset:7584                         // 00000000524C: D81A1DA0 0000C10D
	buffer_load_dword v40, v1, s[8:11], 0 idxen                // 000000005254: E0502000 80022801
	buffer_load_dword v41, v2, s[8:11], 0 idxen                // 00000000525C: E0502000 80022902
	buffer_load_dword v42, v3, s[8:11], 0 idxen                // 000000005264: E0502000 80022A03
	buffer_load_dword v43, v4, s[8:11], 0 idxen                // 00000000526C: E0502000 80022B04
	buffer_load_dword v48, v231, s[20:23], 0 idxen             // 000000005274: E0502000 800530E7
	buffer_load_dword v49, v232, s[20:23], 0 idxen             // 00000000527C: E0502000 800531E8
	buffer_load_dword v50, v233, s[20:23], 0 idxen             // 000000005284: E0502000 800532E9
	buffer_load_dword v51, v234, s[20:23], 0 idxen             // 00000000528C: E0502000 800533EA
	s_waitcnt lgkmcnt(0)                                       // 000000005294: BF8CC07F
	s_barrier                                                  // 000000005298: BF8A0000
	ds_read_b128 a[80:83], v24                                 // 00000000529C: DBFE0000 50000018
	ds_read_b128 a[84:87], v24 offset:512                      // 0000000052A4: DBFE0200 54000018
	s_add_u32 s60, 64, s59                                     // 0000000052AC: 803C3BC0
	s_cmp_lt_u32 s60, s58                                      // 0000000052B0: BF0A3A3C
	s_cselect_b32 s68, s68, 0                                  // 0000000052B4: 85448044
	s_cselect_b32 s95, s95, 0                                  // 0000000052B8: 855F805F
	v_add_u32_e32 v1, s68, v1                                  // 0000000052BC: 68020244
	v_add_u32_e32 v2, s68, v2                                  // 0000000052C0: 68040444
	v_add_u32_e32 v3, s68, v3                                  // 0000000052C4: 68060644
	v_add_u32_e32 v4, s68, v4                                  // 0000000052C8: 68080844
	v_add_u32_e32 v231, s95, v231                              // 0000000052CC: 69CFCE5F
	v_add_u32_e32 v232, s95, v232                              // 0000000052D0: 69D1D05F
	v_add_u32_e32 v233, s95, v233                              // 0000000052D4: 69D3D25F
	v_add_u32_e32 v234, s95, v234                              // 0000000052D8: 69D5D45F
	s_waitcnt vmcnt(16) lgkmcnt(0)                             // 0000000052DC: BF8C4070
	s_barrier                                                  // 0000000052E0: BF8A0000
	s_cmp_lt_i32 2, s73                                        // 0000000052E4: BF044982
	s_cbranch_scc1 label_04C3                                  // 0000000052E8: BF850008
	v_mov_b32_e32 v194, 0                                      // 0000000052EC: 7F840280
	v_mov_b32_e32 v195, 0                                      // 0000000052F0: 7F860280
	v_mov_b32_e32 v196, 0                                      // 0000000052F4: 7F880280
	v_mov_b32_e32 v197, 0                                      // 0000000052F8: 7F8A0280
	v_mov_b32_e32 v198, 0                                      // 0000000052FC: 7F8C0280
	v_mov_b32_e32 v199, 0                                      // 000000005300: 7F8E0280
	v_mov_b32_e32 v200, 0                                      // 000000005304: 7F900280
	v_mov_b32_e32 v201, 0                                      // 000000005308: 7F920280

000000000000530c <label_04C3>:
	ds_write_b32 v13, v194                                     // 00000000530C: D81A0000 0000C20D
	ds_write_b32 v13, v195 offset:1056                         // 000000005314: D81A0420 0000C30D
	ds_write_b32 v13, v196 offset:2176                         // 00000000531C: D81A0880 0000C40D
	ds_write_b32 v13, v197 offset:3232                         // 000000005324: D81A0CA0 0000C50D
	ds_write_b32 v13, v198 offset:4352                         // 00000000532C: D81A1100 0000C60D
	ds_write_b32 v13, v199 offset:5408                         // 000000005334: D81A1520 0000C70D
	ds_write_b32 v13, v200 offset:6528                         // 00000000533C: D81A1980 0000C80D
	ds_write_b32 v13, v201 offset:7584                         // 000000005344: D81A1DA0 0000C90D
	s_waitcnt lgkmcnt(0)                                       // 00000000534C: BF8CC07F
	s_barrier                                                  // 000000005350: BF8A0000
	ds_read_b128 a[88:91], v24                                 // 000000005354: DBFE0000 58000018
	ds_read_b128 a[92:95], v24 offset:512                      // 00000000535C: DBFE0200 5C000018
	s_waitcnt vmcnt(8) lgkmcnt(0)                              // 000000005364: BF8C0078
	s_barrier                                                  // 000000005368: BF8A0000
	buffer_load_dword v11, s[24:27], 0 idxen lds               // 00000000536C: E0512000 8006000B
	s_mov_b32 m0, s77                                          // 000000005374: BEFC004D
	v_add_u32_e32 v11, s69, v11                                // 000000005378: 68161645
	v_perm_b32 v100, v37, v36, s63                             // 00000000537C: D1ED0064 00FE4925
	v_perm_b32 v101, v37, v36, s64                             // 000000005384: D1ED0065 01024925
	v_perm_b32 v102, v39, v38, s63                             // 00000000538C: D1ED0066 00FE4D27
	v_perm_b32 v103, v39, v38, s64                             // 000000005394: D1ED0067 01024D27
	ds_write_b32 v15, v100 offset:4352                         // 00000000539C: D81A1100 0000640F
	ds_write_b32 v15, v101 offset:5408                         // 0000000053A4: D81A1520 0000650F
	ds_write_b32 v15, v102 offset:6528                         // 0000000053AC: D81A1980 0000660F
	ds_write_b32 v15, v103 offset:7584                         // 0000000053B4: D81A1DA0 0000670F
	ds_write_b32 v13, v36                                      // 0000000053BC: D81A0000 0000240D
	ds_write_b32 v13, v37 offset:1056                          // 0000000053C4: D81A0420 0000250D
	ds_write_b32 v13, v38 offset:2176                          // 0000000053CC: D81A0880 0000260D
	ds_write_b32 v13, v39 offset:3232                          // 0000000053D4: D81A0CA0 0000270D
	buffer_load_dword v11, s[24:27], 0 idxen lds               // 0000000053DC: E0512000 8006000B
	s_add_u32 s60, 64, s59                                     // 0000000053E4: 803C3BC0
	s_cmp_lt_u32 s60, s58                                      // 0000000053E8: BF0A3A3C
	s_cselect_b32 s69, s69, 0                                  // 0000000053EC: 85458045
	s_mov_b32 m0, s76                                          // 0000000053F0: BEFC004C
	v_add_u32_e32 v11, s69, v11                                // 0000000053F4: 68161645
	v_perm_b32 v104, v45, v44, s63                             // 0000000053F8: D1ED0068 00FE592D
	v_perm_b32 v105, v45, v44, s64                             // 000000005400: D1ED0069 0102592D
	v_perm_b32 v106, v47, v46, s63                             // 000000005408: D1ED006A 00FE5D2F
	v_perm_b32 v107, v47, v46, s64                             // 000000005410: D1ED006B 01025D2F
	ds_write_b32 v15, v104 offset:13056                        // 000000005418: D81A3300 0000680F
	ds_write_b32 v15, v105 offset:14112                        // 000000005420: D81A3720 0000690F
	ds_write_b32 v15, v106 offset:15232                        // 000000005428: D81A3B80 00006A0F
	ds_write_b32 v15, v107 offset:16288                        // 000000005430: D81A3FA0 00006B0F
	ds_write_b32 v13, v44 offset:8704                          // 000000005438: D81A2200 00002C0D
	ds_write_b32 v13, v45 offset:9760                          // 000000005440: D81A2620 00002D0D
	ds_write_b32 v13, v46 offset:10880                         // 000000005448: D81A2A80 00002E0D
	ds_write_b32 v13, v47 offset:11936                         // 000000005450: D81A2EA0 00002F0D
	s_waitcnt vmcnt(1) lgkmcnt(0)                              // 000000005458: BF8C0071
	s_barrier                                                  // 00000000545C: BF8A0000
	ds_read_b128 a[96:99], v12                                 // 000000005460: DBFE0000 6000000C
	ds_read_b128 a[100:103], v12 offset:512                    // 000000005468: DBFE0200 6400000C
	ds_read_b128 a[104:107], v12 offset:2176                   // 000000005470: DBFE0880 6800000C
	ds_read_b128 a[108:111], v12 offset:2688                   // 000000005478: DBFE0A80 6C00000C
	ds_read_b128 v[108:111], v12 offset:8704                   // 000000005480: D9FE2200 6C00000C
	ds_read_b128 v[112:115], v12 offset:9216                   // 000000005488: D9FE2400 7000000C
	ds_read_b128 v[116:119], v12 offset:10880                  // 000000005490: D9FE2A80 7400000C
	ds_read_b128 v[120:123], v12 offset:11392                  // 000000005498: D9FE2C80 7800000C
	ds_read_b32 v140, v23 offset:39424                         // 0000000054A0: D86C9A00 8C000017
	ds_read_b32 v144, v23 offset:39488                         // 0000000054A8: D86C9A40 90000017
	ds_read_b32 v176, v23 offset:39680                         // 0000000054B0: D86C9B00 B0000017
	ds_read_b32 v177, v23 offset:39744                         // 0000000054B8: D86C9B40 B1000017
	v_accvgpr_write_b32 a112, 0                                // 0000000054C0: D3D94070 18000080
	v_mov_b32_e32 v178, 0                                      // 0000000054C8: 7F640280
	v_accvgpr_write_b32 a113, 0                                // 0000000054CC: D3D94071 18000080
	v_mov_b32_e32 v179, 0                                      // 0000000054D4: 7F660280
	v_accvgpr_write_b32 a114, 0                                // 0000000054D8: D3D94072 18000080
	v_mov_b32_e32 v180, 0                                      // 0000000054E0: 7F680280
	v_accvgpr_write_b32 a115, 0                                // 0000000054E4: D3D94073 18000080
	v_mov_b32_e32 v181, 0                                      // 0000000054EC: 7F6A0280
	v_accvgpr_write_b32 a116, 0                                // 0000000054F0: D3D94074 18000080
	v_mov_b32_e32 v182, 0                                      // 0000000054F8: 7F6C0280
	v_accvgpr_write_b32 a117, 0                                // 0000000054FC: D3D94075 18000080
	v_mov_b32_e32 v183, 0                                      // 000000005504: 7F6E0280
	v_accvgpr_write_b32 a118, 0                                // 000000005508: D3D94076 18000080
	v_mov_b32_e32 v184, 0                                      // 000000005510: 7F700280
	v_accvgpr_write_b32 a119, 0                                // 000000005514: D3D94077 18000080
	v_mov_b32_e32 v185, 0                                      // 00000000551C: 7F720280
	v_accvgpr_write_b32 a120, 0                                // 000000005520: D3D94078 18000080
	v_mov_b32_e32 v186, 0                                      // 000000005528: 7F740280
	v_accvgpr_write_b32 a121, 0                                // 00000000552C: D3D94079 18000080
	v_mov_b32_e32 v187, 0                                      // 000000005534: 7F760280
	v_accvgpr_write_b32 a122, 0                                // 000000005538: D3D9407A 18000080
	v_mov_b32_e32 v188, 0                                      // 000000005540: 7F780280
	v_accvgpr_write_b32 a123, 0                                // 000000005544: D3D9407B 18000080
	v_mov_b32_e32 v189, 0                                      // 00000000554C: 7F7A0280
	v_accvgpr_write_b32 a124, 0                                // 000000005550: D3D9407C 18000080
	v_mov_b32_e32 v190, 0                                      // 000000005558: 7F7C0280
	v_accvgpr_write_b32 a125, 0                                // 00000000555C: D3D9407D 18000080
	v_mov_b32_e32 v191, 0                                      // 000000005564: 7F7E0280
	v_accvgpr_write_b32 a126, 0                                // 000000005568: D3D9407E 18000080
	v_mov_b32_e32 v192, 0                                      // 000000005570: 7F800280
	v_accvgpr_write_b32 a127, 0                                // 000000005574: D3D9407F 18000080
	v_mov_b32_e32 v193, 0                                      // 00000000557C: 7F820280
	v_accvgpr_write_b32 a128, 0                                // 000000005580: D3D94080 18000080
	v_mov_b32_e32 v194, 0                                      // 000000005588: 7F840280
	v_accvgpr_write_b32 a129, 0                                // 00000000558C: D3D94081 18000080
	v_mov_b32_e32 v195, 0                                      // 000000005594: 7F860280
	v_accvgpr_write_b32 a130, 0                                // 000000005598: D3D94082 18000080
	v_mov_b32_e32 v196, 0                                      // 0000000055A0: 7F880280
	v_accvgpr_write_b32 a131, 0                                // 0000000055A4: D3D94083 18000080
	v_mov_b32_e32 v197, 0                                      // 0000000055AC: 7F8A0280
	v_accvgpr_write_b32 a132, 0                                // 0000000055B0: D3D94084 18000080
	v_mov_b32_e32 v198, 0                                      // 0000000055B8: 7F8C0280
	v_accvgpr_write_b32 a133, 0                                // 0000000055BC: D3D94085 18000080
	v_mov_b32_e32 v199, 0                                      // 0000000055C4: 7F8E0280
	v_accvgpr_write_b32 a134, 0                                // 0000000055C8: D3D94086 18000080
	v_mov_b32_e32 v200, 0                                      // 0000000055D0: 7F900280
	v_accvgpr_write_b32 a135, 0                                // 0000000055D4: D3D94087 18000080
	v_mov_b32_e32 v201, 0                                      // 0000000055DC: 7F920280
	v_accvgpr_write_b32 a136, 0                                // 0000000055E0: D3D94088 18000080
	v_mov_b32_e32 v202, 0                                      // 0000000055E8: 7F940280
	v_accvgpr_write_b32 a137, 0                                // 0000000055EC: D3D94089 18000080
	v_mov_b32_e32 v203, 0                                      // 0000000055F4: 7F960280
	v_accvgpr_write_b32 a138, 0                                // 0000000055F8: D3D9408A 18000080
	v_mov_b32_e32 v204, 0                                      // 000000005600: 7F980280
	v_accvgpr_write_b32 a139, 0                                // 000000005604: D3D9408B 18000080
	v_mov_b32_e32 v205, 0                                      // 00000000560C: 7F9A0280
	v_accvgpr_write_b32 a140, 0                                // 000000005610: D3D9408C 18000080
	v_mov_b32_e32 v206, 0                                      // 000000005618: 7F9C0280
	v_accvgpr_write_b32 a141, 0                                // 00000000561C: D3D9408D 18000080
	v_mov_b32_e32 v207, 0                                      // 000000005624: 7F9E0280
	v_accvgpr_write_b32 a142, 0                                // 000000005628: D3D9408E 18000080
	v_mov_b32_e32 v208, 0                                      // 000000005630: 7FA00280
	v_accvgpr_write_b32 a143, 0                                // 000000005634: D3D9408F 18000080
	v_mov_b32_e32 v209, 0                                      // 00000000563C: 7FA20280
	v_accvgpr_write_b32 a144, 0                                // 000000005640: D3D94090 18000080
	v_mov_b32_e32 v210, 0                                      // 000000005648: 7FA40280
	v_accvgpr_write_b32 a145, 0                                // 00000000564C: D3D94091 18000080
	v_mov_b32_e32 v211, 0                                      // 000000005654: 7FA60280
	v_accvgpr_write_b32 a146, 0                                // 000000005658: D3D94092 18000080
	v_mov_b32_e32 v212, 0                                      // 000000005660: 7FA80280
	v_accvgpr_write_b32 a147, 0                                // 000000005664: D3D94093 18000080
	v_mov_b32_e32 v213, 0                                      // 00000000566C: 7FAA0280
	v_accvgpr_write_b32 a148, 0                                // 000000005670: D3D94094 18000080
	v_mov_b32_e32 v214, 0                                      // 000000005678: 7FAC0280
	v_accvgpr_write_b32 a149, 0                                // 00000000567C: D3D94095 18000080
	v_mov_b32_e32 v215, 0                                      // 000000005684: 7FAE0280
	v_accvgpr_write_b32 a150, 0                                // 000000005688: D3D94096 18000080
	v_mov_b32_e32 v216, 0                                      // 000000005690: 7FB00280
	v_accvgpr_write_b32 a151, 0                                // 000000005694: D3D94097 18000080
	v_mov_b32_e32 v217, 0                                      // 00000000569C: 7FB20280
	v_accvgpr_write_b32 a152, 0                                // 0000000056A0: D3D94098 18000080
	v_mov_b32_e32 v218, 0                                      // 0000000056A8: 7FB40280
	v_accvgpr_write_b32 a153, 0                                // 0000000056AC: D3D94099 18000080
	v_mov_b32_e32 v219, 0                                      // 0000000056B4: 7FB60280
	v_accvgpr_write_b32 a154, 0                                // 0000000056B8: D3D9409A 18000080
	v_mov_b32_e32 v220, 0                                      // 0000000056C0: 7FB80280
	v_accvgpr_write_b32 a155, 0                                // 0000000056C4: D3D9409B 18000080
	v_mov_b32_e32 v221, 0                                      // 0000000056CC: 7FBA0280
	v_accvgpr_write_b32 a156, 0                                // 0000000056D0: D3D9409C 18000080
	v_mov_b32_e32 v222, 0                                      // 0000000056D8: 7FBC0280
	v_accvgpr_write_b32 a157, 0                                // 0000000056DC: D3D9409D 18000080
	v_mov_b32_e32 v223, 0                                      // 0000000056E4: 7FBE0280
	v_accvgpr_write_b32 a158, 0                                // 0000000056E8: D3D9409E 18000080
	v_mov_b32_e32 v224, 0                                      // 0000000056F0: 7FC00280
	v_accvgpr_write_b32 a159, 0                                // 0000000056F4: D3D9409F 18000080
	v_mov_b32_e32 v225, 0                                      // 0000000056FC: 7FC20280
	v_mov_b32_e32 v156, 0                                      // 000000005700: 7F380280
	v_mov_b32_e32 v157, 0                                      // 000000005704: 7F3A0280
	v_mov_b32_e32 v158, 0                                      // 000000005708: 7F3C0280
	v_mov_b32_e32 v159, 0                                      // 00000000570C: 7F3E0280
	v_mov_b32_e32 v160, 0                                      // 000000005710: 7F400280
	v_mov_b32_e32 v161, 0                                      // 000000005714: 7F420280
	v_mov_b32_e32 v162, 0                                      // 000000005718: 7F440280
	v_mov_b32_e32 v163, 0                                      // 00000000571C: 7F460280
	v_mov_b32_e32 v148, 0                                      // 000000005720: 7F280280
	v_mov_b32_e32 v149, 0                                      // 000000005724: 7F2A0280
	v_mov_b32_e32 v150, 0                                      // 000000005728: 7F2C0280
	v_mov_b32_e32 v151, 0                                      // 00000000572C: 7F2E0280
	v_mov_b32_e32 v152, 0                                      // 000000005730: 7F300280
	v_mov_b32_e32 v153, 0                                      // 000000005734: 7F320280
	v_mov_b32_e32 v154, 0                                      // 000000005738: 7F340280
	v_mov_b32_e32 v155, 0                                      // 00000000573C: 7F360280
	s_waitcnt lgkmcnt(0)                                       // 000000005740: BF8CC07F
	s_barrier                                                  // 000000005744: BF8A0000
	buffer_load_dword v36, v1, s[8:11], 0 idxen                // 000000005748: E0502000 80022401
	buffer_load_dword v37, v2, s[8:11], 0 idxen                // 000000005750: E0502000 80022502
	;; [unrolled: 1-line block ×4, first 2 shown]
	buffer_load_dword v44, v231, s[20:23], 0 idxen             // 000000005768: E0502000 80052CE7
	buffer_load_dword v45, v232, s[20:23], 0 idxen             // 000000005770: E0502000 80052DE8
	buffer_load_dword v46, v233, s[20:23], 0 idxen             // 000000005778: E0502000 80052EE9
	buffer_load_dword v47, v234, s[20:23], 0 idxen             // 000000005780: E0502000 80052FEA
	buffer_load_dword v11, s[24:27], 0 idxen lds               // 000000005788: E0512000 8006000B
	s_add_u32 s60, 0x60, s59                                   // 000000005790: 803C3BFF 00000060
	s_cmp_lt_u32 s60, s58                                      // 000000005798: BF0A3A3C
	s_cselect_b32 s68, s68, 0                                  // 00000000579C: 85448044
	s_cselect_b32 s95, s95, 0                                  // 0000000057A0: 855F805F
	s_cselect_b32 s69, s69, 0                                  // 0000000057A4: 85458045
	s_mov_b32 m0, s77                                          // 0000000057A8: BEFC004D
	v_add_u32_e32 v11, s69, v11                                // 0000000057AC: 68161645
	v_add_u32_e32 v1, s68, v1                                  // 0000000057B0: 68020244
	v_add_u32_e32 v2, s68, v2                                  // 0000000057B4: 68040444
	v_add_u32_e32 v3, s68, v3                                  // 0000000057B8: 68060644
	v_add_u32_e32 v4, s68, v4                                  // 0000000057BC: 68080844
	v_add_u32_e32 v231, s95, v231                              // 0000000057C0: 69CFCE5F
	v_add_u32_e32 v232, s95, v232                              // 0000000057C4: 69D1D05F
	v_add_u32_e32 v233, s95, v233                              // 0000000057C8: 69D3D25F
	v_add_u32_e32 v234, s95, v234                              // 0000000057CC: 69D5D45F
	v_mul_f32_e32 v140, s48, v140                              // 0000000057D0: 0B191830
	v_mul_f32_e32 v144, s48, v144                              // 0000000057D4: 0B212030
	v_perm_b32 v100, v41, v40, s63                             // 0000000057D8: D1ED0064 00FE5129
	v_perm_b32 v101, v41, v40, s64                             // 0000000057E0: D1ED0065 01025129
	v_perm_b32 v102, v43, v42, s63                             // 0000000057E8: D1ED0066 00FE552B
	v_perm_b32 v103, v43, v42, s64                             // 0000000057F0: D1ED0067 0102552B
	v_perm_b32 v104, v49, v48, s63                             // 0000000057F8: D1ED0068 00FE6131
	v_perm_b32 v105, v49, v48, s64                             // 000000005800: D1ED0069 01026131
	v_perm_b32 v106, v51, v50, s63                             // 000000005808: D1ED006A 00FE6533
	v_perm_b32 v107, v51, v50, s64                             // 000000005810: D1ED006B 01026533
	v_mov_b32_dpp v143, v140 quad_perm:[3,3,3,3] row_mask:0xf bank_mask:0xf// 000000005818: 7F1E02FA FF00FF8C
	v_mov_b32_dpp v142, v140 quad_perm:[2,2,2,2] row_mask:0xf bank_mask:0xf// 000000005820: 7F1C02FA FF00AA8C
	v_mov_b32_dpp v141, v140 quad_perm:[1,1,1,1] row_mask:0xf bank_mask:0xf// 000000005828: 7F1A02FA FF00558C
	v_mov_b32_dpp v140, v140 quad_perm:[0,0,0,0] row_mask:0xf bank_mask:0xf// 000000005830: 7F1802FA FF00008C
	v_mov_b32_dpp v147, v144 quad_perm:[3,3,3,3] row_mask:0xf bank_mask:0xf// 000000005838: 7F2602FA FF00FF90
	v_mov_b32_dpp v146, v144 quad_perm:[2,2,2,2] row_mask:0xf bank_mask:0xf// 000000005840: 7F2402FA FF00AA90
	v_mov_b32_dpp v145, v144 quad_perm:[1,1,1,1] row_mask:0xf bank_mask:0xf// 000000005848: 7F2202FA FF005590
	v_mov_b32_dpp v144, v144 quad_perm:[0,0,0,0] row_mask:0xf bank_mask:0xf// 000000005850: 7F2002FA FF000090
	s_waitcnt vmcnt(9)                                         // 000000005858: BF8C0F79
	s_barrier                                                  // 00000000585C: BF8A0000
	s_cmp_lt_i32 s46, 2                                        // 000000005860: BF04822E
	s_cbranch_scc0 label_0EF4                                  // 000000005864: BF8408C8
	s_nop 0                                                    // 000000005868: BF800000
	s_nop 0                                                    // 00000000586C: BF800000

0000000000005870 <label_061C>:
	s_waitcnt lgkmcnt(0)                                       // 000000005870: BF8CC07F
	s_barrier                                                  // 000000005874: BF8A0000
	v_mfma_f32_16x16x16_bf16 v[52:55], a[96:97], a[0:1], 0     // 000000005878: D3E10034 1A020160
	ds_write_b32 v13, v48 offset:8704                          // 000000005880: D81A2200 0000300D
	ds_write_b32 v13, v49 offset:9760                          // 000000005888: D81A2620 0000310D
	v_mfma_f32_16x16x16_bf16 v[52:55], a[98:99], a[2:3], v[52:55]// 000000005890: D3E10034 1CD20562
	v_mul_f32_e32 v148, s47, v148                              // 000000005898: 0B29282F
	v_mul_f32_e32 v149, s47, v149                              // 00000000589C: 0B2B2A2F
	v_mfma_f32_16x16x16_bf16 v[52:55], a[100:101], a[4:5], v[52:55]// 0000000058A0: D3E10034 1CD20964
	ds_write_b32 v13, v50 offset:10880                         // 0000000058A8: D81A2A80 0000320D
	ds_write_b32 v13, v51 offset:11936                         // 0000000058B0: D81A2EA0 0000330D
	v_mfma_f32_16x16x16_bf16 v[52:55], a[102:103], a[6:7], v[52:55]// 0000000058B8: D3E10034 1CD20D66
	v_mul_f32_e32 v150, s47, v150                              // 0000000058C0: 0B2D2C2F
	v_mul_f32_e32 v151, s47, v151                              // 0000000058C4: 0B2F2E2F
	v_mfma_f32_16x16x16_bf16 v[56:59], a[96:97], a[8:9], 0     // 0000000058C8: D3E10038 1A021160
	ds_write_b64 v22, v[148:149] offset:31232                  // 0000000058D0: D89A7A00 00009416
	v_mfma_f32_16x16x16_bf16 v[56:59], a[98:99], a[10:11], v[56:59]// 0000000058D8: D3E10038 1CE21562
	v_mul_f32_e32 v152, s47, v152                              // 0000000058E0: 0B31302F
	v_mul_f32_e32 v153, s47, v153                              // 0000000058E4: 0B33322F
	v_mfma_f32_16x16x16_bf16 v[56:59], a[100:101], a[12:13], v[56:59]// 0000000058E8: D3E10038 1CE21964
	ds_write_b64 v22, v[150:151] offset:31744                  // 0000000058F0: D89A7C00 00009616
	v_mfma_f32_16x16x16_bf16 v[56:59], a[102:103], a[14:15], v[56:59]// 0000000058F8: D3E10038 1CE21D66
	v_mul_f32_e32 v154, s47, v154                              // 000000005900: 0B35342F
	v_mul_f32_e32 v155, s47, v155                              // 000000005904: 0B37362F
	v_mfma_f32_16x16x16_bf16 v[60:63], a[96:97], a[16:17], 0   // 000000005908: D3E1003C 1A022160
	ds_write_b64 v22, v[152:153] offset:32256                  // 000000005910: D89A7E00 00009816
	v_mfma_f32_16x16x16_bf16 v[60:63], a[98:99], a[18:19], v[60:63]// 000000005918: D3E1003C 1CF22562
	buffer_atomic_add_f32 v160, v8, s[32:35], 0 idxen          // 000000005920: E1342000 8008A008
	v_mfma_f32_16x16x16_bf16 v[60:63], a[100:101], a[20:21], v[60:63]// 000000005928: D3E1003C 1CF22964
	ds_write_b64 v22, v[154:155] offset:32768                  // 000000005930: D89A8000 00009A16
	v_mfma_f32_16x16x16_bf16 v[60:63], a[102:103], a[22:23], v[60:63]// 000000005938: D3E1003C 1CF22D66
	v_mfma_f32_16x16x16_bf16 v[64:67], a[104:105], a[0:1], 0   // 000000005940: D3E10040 1A020168
	ds_read_b128 v[124:127], v14 offset:13056                  // 000000005948: D9FE3300 7C00000E
	ds_write_b32 v13, v40                                      // 000000005950: D81A0000 0000280D
	v_mfma_f32_16x16x16_bf16 v[64:67], a[106:107], a[2:3], v[64:67]// 000000005958: D3E10040 1D02056A
	buffer_atomic_add_f32 v161, v9, s[32:35], 0 idxen          // 000000005960: E1342000 8008A109
	v_mfma_f32_16x16x16_bf16 v[64:67], a[108:109], a[4:5], v[64:67]// 000000005968: D3E10040 1D02096C
	v_mfma_f32_16x16x16_bf16 v[64:67], a[110:111], a[6:7], v[64:67]// 000000005970: D3E10040 1D020D6E
	ds_read_b128 v[128:131], v14 offset:13568                  // 000000005978: D9FE3500 8000000E
	ds_write_b32 v13, v41 offset:1056                          // 000000005980: D81A0420 0000290D
	v_mfma_f32_16x16x16_bf16 v[68:71], a[104:105], a[8:9], 0   // 000000005988: D3E10044 1A021168
	buffer_atomic_add_f32 v162, v8, s[32:35], 0 idxen offset:128// 000000005990: E1342080 8008A208
	v_mfma_f32_16x16x16_bf16 v[68:71], a[106:107], a[10:11], v[68:71]// 000000005998: D3E10044 1D12156A
	v_mfma_f32_16x16x16_bf16 v[68:71], a[108:109], a[12:13], v[68:71]// 0000000059A0: D3E10044 1D12196C
	ds_read_b128 v[132:135], v14 offset:15232                  // 0000000059A8: D9FE3B80 8400000E
	ds_write_b32 v13, v42 offset:2176                          // 0000000059B0: D81A0880 00002A0D
	v_mfma_f32_16x16x16_bf16 v[68:71], a[110:111], a[14:15], v[68:71]// 0000000059B8: D3E10044 1D121D6E
	v_mfma_f32_16x16x16_bf16 v[72:75], a[104:105], a[16:17], 0 // 0000000059C0: D3E10048 1A022168
	buffer_atomic_add_f32 v163, v9, s[32:35], 0 idxen offset:128// 0000000059C8: E1342080 8008A309
	v_mfma_f32_16x16x16_bf16 v[72:75], a[106:107], a[18:19], v[72:75]// 0000000059D0: D3E10048 1D22256A
	ds_read_b128 v[136:139], v14 offset:15744                  // 0000000059D8: D9FE3D80 8800000E
	ds_write_b32 v13, v43 offset:3232                          // 0000000059E0: D81A0CA0 00002B0D
	v_mfma_f32_16x16x16_bf16 v[72:75], a[108:109], a[20:21], v[72:75]// 0000000059E8: D3E10048 1D22296C
	v_mfma_f32_16x16x16_bf16 v[72:75], a[110:111], a[22:23], v[72:75]// 0000000059F0: D3E10048 1D222D6E
	s_cmp_lt_i32 s97, 0xc0                                     // 0000000059F8: BF04FF61 000000C0
	s_cbranch_scc0 label_06F7                                  // 000000005A00: BF84006D
	s_cmp_le_i32 s97, 64                                       // 000000005A04: BF05C061
	s_cbranch_scc1 label_068A                                  // 000000005A08: BF850007
	s_cmp_le_i32 s97, 0x80                                     // 000000005A0C: BF05FF61 00000080
	s_cbranch_scc1 label_06AE                                  // 000000005A14: BF85001F
	s_cmp_lt_i32 s97, 0xc0                                     // 000000005A18: BF04FF61 000000C0
	s_cbranch_scc1 label_06D2                                  // 000000005A20: BF850040
	s_branch label_06F7                                        // 000000005A24: BF820064

0000000000005a28 <label_068A>:
	s_mov_b32 s60, 0                                           // 000000005A28: BEBC0080
	v_and_b32_e32 v32, 15, v0                                  // 000000005A2C: 2640008F
	v_add_u32_e64 v32, v32, s60                                // 000000005A30: D1340020 00007920
	v_mul_i32_i24_e64 v33, s46, 16                             // 000000005A38: D1060021 0001202E
	v_add_u32_e32 v32, v32, v33                                // 000000005A40: 68404320
	v_cmp_lt_u32_e64 s[60:61], v32, s97                        // 000000005A44: D0C9003C 0000C320
	s_nop 1                                                    // 000000005A4C: BF800001
	v_cndmask_b32_e64 v52, v230, v52, s[60:61]                 // 000000005A50: D1000034 00F269E6
	v_cndmask_b32_e64 v64, v230, v64, s[60:61]                 // 000000005A58: D1000040 00F281E6
	v_cndmask_b32_e64 v53, v230, v53, s[60:61]                 // 000000005A60: D1000035 00F26BE6
	v_cndmask_b32_e64 v65, v230, v65, s[60:61]                 // 000000005A68: D1000041 00F283E6
	v_cndmask_b32_e64 v54, v230, v54, s[60:61]                 // 000000005A70: D1000036 00F26DE6
	v_cndmask_b32_e64 v66, v230, v66, s[60:61]                 // 000000005A78: D1000042 00F285E6
	v_cndmask_b32_e64 v55, v230, v55, s[60:61]                 // 000000005A80: D1000037 00F26FE6
	v_cndmask_b32_e64 v67, v230, v67, s[60:61]                 // 000000005A88: D1000043 00F287E6
	s_branch label_06C9                                        // 000000005A90: BF82001B

0000000000005a94 <label_06AE>:
	s_mov_b32 s60, 64                                          // 000000005A94: BEBC00C0
	v_and_b32_e32 v32, 15, v0                                  // 000000005A98: 2640008F
	v_add_u32_e64 v32, v32, s60                                // 000000005A9C: D1340020 00007920
	v_mul_i32_i24_e64 v33, s46, 16                             // 000000005AA4: D1060021 0001202E
	v_add_u32_e32 v32, v32, v33                                // 000000005AAC: 68404320
	v_cmp_lt_u32_e64 s[60:61], v32, s97                        // 000000005AB0: D0C9003C 0000C320
	s_nop 1                                                    // 000000005AB8: BF800001
	v_cndmask_b32_e64 v56, v230, v56, s[60:61]                 // 000000005ABC: D1000038 00F271E6
	v_cndmask_b32_e64 v68, v230, v68, s[60:61]                 // 000000005AC4: D1000044 00F289E6
	v_cndmask_b32_e64 v57, v230, v57, s[60:61]                 // 000000005ACC: D1000039 00F273E6
	v_cndmask_b32_e64 v69, v230, v69, s[60:61]                 // 000000005AD4: D1000045 00F28BE6
	v_cndmask_b32_e64 v58, v230, v58, s[60:61]                 // 000000005ADC: D100003A 00F275E6
	v_cndmask_b32_e64 v70, v230, v70, s[60:61]                 // 000000005AE4: D1000046 00F28DE6
	v_cndmask_b32_e64 v59, v230, v59, s[60:61]                 // 000000005AEC: D100003B 00F277E6
	v_cndmask_b32_e64 v71, v230, v71, s[60:61]                 // 000000005AF4: D1000047 00F28FE6
	s_branch label_06EE                                        // 000000005AFC: BF820025

0000000000005b00 <label_06C9>:
	v_mov_b32_e32 v56, v230                                    // 000000005B00: 7E7003E6
	v_mov_b32_e32 v68, v230                                    // 000000005B04: 7E8803E6
	v_mov_b32_e32 v57, v230                                    // 000000005B08: 7E7203E6
	v_mov_b32_e32 v69, v230                                    // 000000005B0C: 7E8A03E6
	v_mov_b32_e32 v58, v230                                    // 000000005B10: 7E7403E6
	v_mov_b32_e32 v70, v230                                    // 000000005B14: 7E8C03E6
	v_mov_b32_e32 v59, v230                                    // 000000005B18: 7E7603E6
	v_mov_b32_e32 v71, v230                                    // 000000005B1C: 7E8E03E6
	s_branch label_06EE                                        // 000000005B20: BF82001C

0000000000005b24 <label_06D2>:
	s_mov_b32 s60, 0x80                                        // 000000005B24: BEBC00FF 00000080
	v_and_b32_e32 v32, 15, v0                                  // 000000005B2C: 2640008F
	v_add_u32_e64 v32, v32, s60                                // 000000005B30: D1340020 00007920
	v_mul_i32_i24_e64 v33, s46, 16                             // 000000005B38: D1060021 0001202E
	v_add_u32_e32 v32, v32, v33                                // 000000005B40: 68404320
	v_cmp_lt_u32_e64 s[60:61], v32, s97                        // 000000005B44: D0C9003C 0000C320
	s_nop 1                                                    // 000000005B4C: BF800001
	v_cndmask_b32_e64 v60, v230, v60, s[60:61]                 // 000000005B50: D100003C 00F279E6
	v_cndmask_b32_e64 v72, v230, v72, s[60:61]                 // 000000005B58: D1000048 00F291E6
	v_cndmask_b32_e64 v61, v230, v61, s[60:61]                 // 000000005B60: D100003D 00F27BE6
	v_cndmask_b32_e64 v73, v230, v73, s[60:61]                 // 000000005B68: D1000049 00F293E6
	v_cndmask_b32_e64 v62, v230, v62, s[60:61]                 // 000000005B70: D100003E 00F27DE6
	v_cndmask_b32_e64 v74, v230, v74, s[60:61]                 // 000000005B78: D100004A 00F295E6
	v_cndmask_b32_e64 v63, v230, v63, s[60:61]                 // 000000005B80: D100003F 00F27FE6
	v_cndmask_b32_e64 v75, v230, v75, s[60:61]                 // 000000005B88: D100004B 00F297E6
	s_branch label_06F7                                        // 000000005B90: BF820009

0000000000005b94 <label_06EE>:
	v_mov_b32_e32 v60, v230                                    // 000000005B94: 7E7803E6
	v_mov_b32_e32 v72, v230                                    // 000000005B98: 7E9003E6
	v_mov_b32_e32 v61, v230                                    // 000000005B9C: 7E7A03E6
	v_mov_b32_e32 v73, v230                                    // 000000005BA0: 7E9203E6
	v_mov_b32_e32 v62, v230                                    // 000000005BA4: 7E7C03E6
	v_mov_b32_e32 v74, v230                                    // 000000005BA8: 7E9403E6
	v_mov_b32_e32 v63, v230                                    // 000000005BAC: 7E7E03E6
	v_mov_b32_e32 v75, v230                                    // 000000005BB0: 7E9603E6
	s_branch label_06F7                                        // 000000005BB4: BF820000

0000000000005bb8 <label_06F7>:
	s_waitcnt lgkmcnt(8)                                       // 000000005BB8: BF8CC87F
	s_barrier                                                  // 000000005BBC: BF8A0000
	v_mfma_f32_16x16x16_bf16 v[76:79], v[108:109], a[72:73], 0 // 000000005BC0: D3E1004C 1202916C
	ds_read_b128 a[96:99], v14 offset:4352                     // 000000005BC8: DBFE1100 6000000E
	ds_read_b128 a[100:103], v14 offset:4864                   // 000000005BD0: DBFE1300 6400000E
	v_mfma_f32_16x16x16_bf16 v[76:79], v[110:111], a[74:75], v[76:79]// 000000005BD8: D3E1004C 1532956E
	v_fma_f32 v52, v52, s57, -v140                             // 000000005BE0: D1CB0034 86307334
	v_fma_f32 v53, v53, s57, -v141                             // 000000005BE8: D1CB0035 86347335
	v_fma_f32 v54, v54, s57, -v142                             // 000000005BF0: D1CB0036 86387336
	v_fma_f32 v55, v55, s57, -v143                             // 000000005BF8: D1CB0037 863C7337
	v_fma_f32 v56, v56, s57, -v140                             // 000000005C00: D1CB0038 86307338
	v_fma_f32 v57, v57, s57, -v141                             // 000000005C08: D1CB0039 86347339
	v_mfma_f32_16x16x16_bf16 v[76:79], v[112:113], a[76:77], v[76:79]// 000000005C10: D3E1004C 15329970
	v_fma_f32 v58, v58, s57, -v142                             // 000000005C18: D1CB003A 8638733A
	v_fma_f32 v59, v59, s57, -v143                             // 000000005C20: D1CB003B 863C733B
	v_fma_f32 v60, v60, s57, -v140                             // 000000005C28: D1CB003C 8630733C
	v_fma_f32 v61, v61, s57, -v141                             // 000000005C30: D1CB003D 8634733D
	v_fma_f32 v62, v62, s57, -v142                             // 000000005C38: D1CB003E 8638733E
	v_fma_f32 v63, v63, s57, -v143                             // 000000005C40: D1CB003F 863C733F
	v_mfma_f32_16x16x16_bf16 v[76:79], v[114:115], a[78:79], v[76:79]// 000000005C48: D3E1004C 15329D72
	v_fma_f32 v64, v64, s57, -v144                             // 000000005C50: D1CB0040 86407340
	v_fma_f32 v65, v65, s57, -v145                             // 000000005C58: D1CB0041 86447341
	v_fma_f32 v66, v66, s57, -v146                             // 000000005C60: D1CB0042 86487342
	v_fma_f32 v67, v67, s57, -v147                             // 000000005C68: D1CB0043 864C7343
	v_fma_f32 v68, v68, s57, -v144                             // 000000005C70: D1CB0044 86407344
	v_fma_f32 v69, v69, s57, -v145                             // 000000005C78: D1CB0045 86447345
	v_mfma_f32_16x16x16_bf16 v[80:83], v[108:109], a[80:81], 0 // 000000005C80: D3E10050 1202A16C
	ds_read_b128 a[104:107], v14 offset:6528                   // 000000005C88: DBFE1980 6800000E
	ds_read_b128 a[108:111], v14 offset:7040                   // 000000005C90: DBFE1B80 6C00000E
	v_mfma_f32_16x16x16_bf16 v[80:83], v[110:111], a[82:83], v[80:83]// 000000005C98: D3E10050 1542A56E
	v_fma_f32 v70, v70, s57, -v146                             // 000000005CA0: D1CB0046 86487346
	v_fma_f32 v71, v71, s57, -v147                             // 000000005CA8: D1CB0047 864C7347
	v_fma_f32 v72, v72, s57, -v144                             // 000000005CB0: D1CB0048 86407348
	v_fma_f32 v73, v73, s57, -v145                             // 000000005CB8: D1CB0049 86447349
	v_fma_f32 v74, v74, s57, -v146                             // 000000005CC0: D1CB004A 8648734A
	v_fma_f32 v75, v75, s57, -v147                             // 000000005CC8: D1CB004B 864C734B
	v_mfma_f32_16x16x16_bf16 v[80:83], v[112:113], a[84:85], v[80:83]// 000000005CD0: D3E10050 1542A970
	v_exp_f32_e32 v52, v52                                     // 000000005CD8: 7E684134
	v_exp_f32_e32 v53, v53                                     // 000000005CDC: 7E6A4135
	v_mfma_f32_16x16x16_bf16 v[80:83], v[114:115], a[86:87], v[80:83]// 000000005CE0: D3E10050 1542AD72
	v_exp_f32_e32 v54, v54                                     // 000000005CE8: 7E6C4136
	v_exp_f32_e32 v55, v55                                     // 000000005CEC: 7E6E4137
	v_mfma_f32_16x16x16_bf16 v[84:87], v[108:109], a[88:89], 0 // 000000005CF0: D3E10054 1202B16C
	ds_read_b64 v[156:157], v21 offset:31232                   // 000000005CF8: D8EC7A00 9C000015
	ds_read_b64 v[158:159], v21 offset:33280                   // 000000005D00: D8EC8200 9E000015
	v_mfma_f32_16x16x16_bf16 v[84:87], v[110:111], a[90:91], v[84:87]// 000000005D08: D3E10054 1552B56E
	v_exp_f32_e32 v56, v56                                     // 000000005D10: 7E704138
	v_exp_f32_e32 v57, v57                                     // 000000005D14: 7E724139
	v_mfma_f32_16x16x16_bf16 v[84:87], v[112:113], a[92:93], v[84:87]// 000000005D18: D3E10054 1552B970
	ds_read_b64 v[160:161], v21 offset:35328                   // 000000005D20: D8EC8A00 A0000015
	ds_read_b64 v[162:163], v21 offset:37376                   // 000000005D28: D8EC9200 A2000015
	v_mfma_f32_16x16x16_bf16 v[84:87], v[114:115], a[94:95], v[84:87]// 000000005D30: D3E10054 1552BD72
	v_exp_f32_e32 v58, v58                                     // 000000005D38: 7E74413A
	v_exp_f32_e32 v59, v59                                     // 000000005D3C: 7E76413B
	v_mfma_f32_16x16x16_bf16 v[88:91], v[116:117], a[72:73], 0 // 000000005D40: D3E10058 12029174
	v_exp_f32_e32 v60, v60                                     // 000000005D48: 7E78413C
	v_exp_f32_e32 v61, v61                                     // 000000005D4C: 7E7A413D
	v_mfma_f32_16x16x16_bf16 v[88:91], v[118:119], a[74:75], v[88:91]// 000000005D50: D3E10058 15629576
	v_exp_f32_e32 v62, v62                                     // 000000005D58: 7E7C413E
	v_exp_f32_e32 v63, v63                                     // 000000005D5C: 7E7E413F
	v_mfma_f32_16x16x16_bf16 v[88:91], v[120:121], a[76:77], v[88:91]// 000000005D60: D3E10058 15629978
	v_exp_f32_e32 v64, v64                                     // 000000005D68: 7E804140
	v_exp_f32_e32 v65, v65                                     // 000000005D6C: 7E824141
	v_mfma_f32_16x16x16_bf16 v[88:91], v[122:123], a[78:79], v[88:91]// 000000005D70: D3E10058 15629D7A
	v_exp_f32_e32 v66, v66                                     // 000000005D78: 7E844142
	v_exp_f32_e32 v67, v67                                     // 000000005D7C: 7E864143
	v_mfma_f32_16x16x16_bf16 v[92:95], v[116:117], a[80:81], 0 // 000000005D80: D3E1005C 1202A174
	v_exp_f32_e32 v68, v68                                     // 000000005D88: 7E884144
	v_exp_f32_e32 v69, v69                                     // 000000005D8C: 7E8A4145
	v_mfma_f32_16x16x16_bf16 v[92:95], v[118:119], a[82:83], v[92:95]// 000000005D90: D3E1005C 1572A576
	v_exp_f32_e32 v70, v70                                     // 000000005D98: 7E8C4146
	v_exp_f32_e32 v71, v71                                     // 000000005D9C: 7E8E4147
	v_mfma_f32_16x16x16_bf16 v[92:95], v[120:121], a[84:85], v[92:95]// 000000005DA0: D3E1005C 1572A978
	v_exp_f32_e32 v72, v72                                     // 000000005DA8: 7E904148
	v_exp_f32_e32 v73, v73                                     // 000000005DAC: 7E924149
	v_mfma_f32_16x16x16_bf16 v[92:95], v[122:123], a[86:87], v[92:95]// 000000005DB0: D3E1005C 1572AD7A
	v_exp_f32_e32 v74, v74                                     // 000000005DB8: 7E94414A
	v_exp_f32_e32 v75, v75                                     // 000000005DBC: 7E96414B
	v_mfma_f32_16x16x16_bf16 v[96:99], v[116:117], a[88:89], 0 // 000000005DC0: D3E10060 1202B174
	v_cmp_u_f32_e64 s[74:75], v52, v52                         // 000000005DC8: D048004A 00026934
	v_add3_u32 v226, v52, v229, 1                              // 000000005DD0: D1FF00E2 0207CB34
	v_cndmask_b32_e64 v32, v226, v228, s[74:75]                // 000000005DD8: D1000020 012BC9E2
	v_cmp_u_f32_e64 s[74:75], v53, v53                         // 000000005DE0: D048004A 00026B35
	v_add3_u32 v226, v53, v229, 1                              // 000000005DE8: D1FF00E2 0207CB35
	v_cndmask_b32_e64 v33, v226, v228, s[74:75]                // 000000005DF0: D1000021 012BC9E2
	v_perm_b32 v164, v33, v32, s64                             // 000000005DF8: D1ED00A4 01024121
	v_cmp_u_f32_e64 s[74:75], v54, v54                         // 000000005E00: D048004A 00026D36
	v_add3_u32 v226, v54, v229, 1                              // 000000005E08: D1FF00E2 0207CB36
	v_cndmask_b32_e64 v32, v226, v228, s[74:75]                // 000000005E10: D1000020 012BC9E2
	v_cmp_u_f32_e64 s[74:75], v55, v55                         // 000000005E18: D048004A 00026F37
	v_add3_u32 v226, v55, v229, 1                              // 000000005E20: D1FF00E2 0207CB37
	v_cndmask_b32_e64 v33, v226, v228, s[74:75]                // 000000005E28: D1000021 012BC9E2
	v_perm_b32 v165, v33, v32, s64                             // 000000005E30: D1ED00A5 01024121
	v_cmp_u_f32_e64 s[74:75], v56, v56                         // 000000005E38: D048004A 00027138
	v_add3_u32 v226, v56, v229, 1                              // 000000005E40: D1FF00E2 0207CB38
	v_cndmask_b32_e64 v32, v226, v228, s[74:75]                // 000000005E48: D1000020 012BC9E2
	v_cmp_u_f32_e64 s[74:75], v57, v57                         // 000000005E50: D048004A 00027339
	v_add3_u32 v226, v57, v229, 1                              // 000000005E58: D1FF00E2 0207CB39
	v_cndmask_b32_e64 v33, v226, v228, s[74:75]                // 000000005E60: D1000021 012BC9E2
	v_perm_b32 v166, v33, v32, s64                             // 000000005E68: D1ED00A6 01024121
	v_cmp_u_f32_e64 s[74:75], v58, v58                         // 000000005E70: D048004A 0002753A
	v_add3_u32 v226, v58, v229, 1                              // 000000005E78: D1FF00E2 0207CB3A
	v_cndmask_b32_e64 v32, v226, v228, s[74:75]                // 000000005E80: D1000020 012BC9E2
	v_cmp_u_f32_e64 s[74:75], v59, v59                         // 000000005E88: D048004A 0002773B
	v_add3_u32 v226, v59, v229, 1                              // 000000005E90: D1FF00E2 0207CB3B
	v_cndmask_b32_e64 v33, v226, v228, s[74:75]                // 000000005E98: D1000021 012BC9E2
	v_perm_b32 v167, v33, v32, s64                             // 000000005EA0: D1ED00A7 01024121
	v_cmp_u_f32_e64 s[74:75], v60, v60                         // 000000005EA8: D048004A 0002793C
	v_add3_u32 v226, v60, v229, 1                              // 000000005EB0: D1FF00E2 0207CB3C
	v_cndmask_b32_e64 v32, v226, v228, s[74:75]                // 000000005EB8: D1000020 012BC9E2
	v_cmp_u_f32_e64 s[74:75], v61, v61                         // 000000005EC0: D048004A 00027B3D
	v_add3_u32 v226, v61, v229, 1                              // 000000005EC8: D1FF00E2 0207CB3D
	v_cndmask_b32_e64 v33, v226, v228, s[74:75]                // 000000005ED0: D1000021 012BC9E2
	v_perm_b32 v168, v33, v32, s64                             // 000000005ED8: D1ED00A8 01024121
	v_cmp_u_f32_e64 s[74:75], v62, v62                         // 000000005EE0: D048004A 00027D3E
	v_add3_u32 v226, v62, v229, 1                              // 000000005EE8: D1FF00E2 0207CB3E
	v_cndmask_b32_e64 v32, v226, v228, s[74:75]                // 000000005EF0: D1000020 012BC9E2
	v_cmp_u_f32_e64 s[74:75], v63, v63                         // 000000005EF8: D048004A 00027F3F
	v_add3_u32 v226, v63, v229, 1                              // 000000005F00: D1FF00E2 0207CB3F
	v_cndmask_b32_e64 v33, v226, v228, s[74:75]                // 000000005F08: D1000021 012BC9E2
	v_perm_b32 v169, v33, v32, s64                             // 000000005F10: D1ED00A9 01024121
	v_mfma_f32_16x16x16_bf16 v[96:99], v[118:119], a[90:91], v[96:99]// 000000005F18: D3E10060 1582B576
	v_cmp_u_f32_e64 s[74:75], v64, v64                         // 000000005F20: D048004A 00028140
	v_add3_u32 v226, v64, v229, 1                              // 000000005F28: D1FF00E2 0207CB40
	v_cndmask_b32_e64 v32, v226, v228, s[74:75]                // 000000005F30: D1000020 012BC9E2
	v_cmp_u_f32_e64 s[74:75], v65, v65                         // 000000005F38: D048004A 00028341
	v_add3_u32 v226, v65, v229, 1                              // 000000005F40: D1FF00E2 0207CB41
	v_cndmask_b32_e64 v33, v226, v228, s[74:75]                // 000000005F48: D1000021 012BC9E2
	v_perm_b32 v170, v33, v32, s64                             // 000000005F50: D1ED00AA 01024121
	v_cmp_u_f32_e64 s[74:75], v66, v66                         // 000000005F58: D048004A 00028542
	v_add3_u32 v226, v66, v229, 1                              // 000000005F60: D1FF00E2 0207CB42
	v_cndmask_b32_e64 v32, v226, v228, s[74:75]                // 000000005F68: D1000020 012BC9E2
	v_cmp_u_f32_e64 s[74:75], v67, v67                         // 000000005F70: D048004A 00028743
	v_add3_u32 v226, v67, v229, 1                              // 000000005F78: D1FF00E2 0207CB43
	v_cndmask_b32_e64 v33, v226, v228, s[74:75]                // 000000005F80: D1000021 012BC9E2
	v_perm_b32 v171, v33, v32, s64                             // 000000005F88: D1ED00AB 01024121
	v_cmp_u_f32_e64 s[74:75], v68, v68                         // 000000005F90: D048004A 00028944
	v_add3_u32 v226, v68, v229, 1                              // 000000005F98: D1FF00E2 0207CB44
	v_cndmask_b32_e64 v32, v226, v228, s[74:75]                // 000000005FA0: D1000020 012BC9E2
	v_cmp_u_f32_e64 s[74:75], v69, v69                         // 000000005FA8: D048004A 00028B45
	v_add3_u32 v226, v69, v229, 1                              // 000000005FB0: D1FF00E2 0207CB45
	v_cndmask_b32_e64 v33, v226, v228, s[74:75]                // 000000005FB8: D1000021 012BC9E2
	v_perm_b32 v172, v33, v32, s64                             // 000000005FC0: D1ED00AC 01024121
	v_cmp_u_f32_e64 s[74:75], v70, v70                         // 000000005FC8: D048004A 00028D46
	v_add3_u32 v226, v70, v229, 1                              // 000000005FD0: D1FF00E2 0207CB46
	v_cndmask_b32_e64 v32, v226, v228, s[74:75]                // 000000005FD8: D1000020 012BC9E2
	v_cmp_u_f32_e64 s[74:75], v71, v71                         // 000000005FE0: D048004A 00028F47
	v_add3_u32 v226, v71, v229, 1                              // 000000005FE8: D1FF00E2 0207CB47
	v_cndmask_b32_e64 v33, v226, v228, s[74:75]                // 000000005FF0: D1000021 012BC9E2
	v_perm_b32 v173, v33, v32, s64                             // 000000005FF8: D1ED00AD 01024121
	v_cmp_u_f32_e64 s[74:75], v72, v72                         // 000000006000: D048004A 00029148
	v_add3_u32 v226, v72, v229, 1                              // 000000006008: D1FF00E2 0207CB48
	v_cndmask_b32_e64 v32, v226, v228, s[74:75]                // 000000006010: D1000020 012BC9E2
	v_cmp_u_f32_e64 s[74:75], v73, v73                         // 000000006018: D048004A 00029349
	v_add3_u32 v226, v73, v229, 1                              // 000000006020: D1FF00E2 0207CB49
	v_cndmask_b32_e64 v33, v226, v228, s[74:75]                // 000000006028: D1000021 012BC9E2
	v_perm_b32 v174, v33, v32, s64                             // 000000006030: D1ED00AE 01024121
	v_cmp_u_f32_e64 s[74:75], v74, v74                         // 000000006038: D048004A 0002954A
	v_add3_u32 v226, v74, v229, 1                              // 000000006040: D1FF00E2 0207CB4A
	v_cndmask_b32_e64 v32, v226, v228, s[74:75]                // 000000006048: D1000020 012BC9E2
	v_cmp_u_f32_e64 s[74:75], v75, v75                         // 000000006050: D048004A 0002974B
	v_add3_u32 v226, v75, v229, 1                              // 000000006058: D1FF00E2 0207CB4B
	v_cndmask_b32_e64 v33, v226, v228, s[74:75]                // 000000006060: D1000021 012BC9E2
	v_perm_b32 v175, v33, v32, s64                             // 000000006068: D1ED00AF 01024121
	v_mfma_f32_16x16x16_bf16 v[96:99], v[120:121], a[92:93], v[96:99]// 000000006070: D3E10060 1582B978
	v_add_u32_e32 v6, s66, v6                                  // 000000006078: 680C0C42
	v_add_u32_e32 v7, s66, v7                                  // 00000000607C: 680E0E42
	v_add_u32_e32 v8, s66, v8                                  // 000000006080: 68101042
	v_add_u32_e32 v9, s66, v9                                  // 000000006084: 68121242
	v_mfma_f32_16x16x16_bf16 v[96:99], v[122:123], a[94:95], v[96:99]// 000000006088: D3E10060 1582BD7A
	s_waitcnt lgkmcnt(0)                                       // 000000006090: BF8CC07F
	s_barrier                                                  // 000000006094: BF8A0000
	v_mfma_f32_16x16x16_bf16 v[178:181], v[124:125], v[164:165], v[178:181]// 000000006098: D3E100B2 06CB497C
	v_subrev_f32_dpp v76, v176, v76 quad_perm:[0,0,0,0] row_mask:0xf bank_mask:0xf// 0000000060A0: 069898FA FF0000B0
	v_subrev_f32_dpp v77, v176, v77 quad_perm:[1,1,1,1] row_mask:0xf bank_mask:0xf// 0000000060A8: 069A9AFA FF0055B0
	v_subrev_f32_dpp v78, v176, v78 quad_perm:[2,2,2,2] row_mask:0xf bank_mask:0xf// 0000000060B0: 069C9CFA FF00AAB0
	v_subrev_f32_dpp v79, v176, v79 quad_perm:[3,3,3,3] row_mask:0xf bank_mask:0xf// 0000000060B8: 069E9EFA FF00FFB0
	v_subrev_f32_dpp v80, v176, v80 quad_perm:[0,0,0,0] row_mask:0xf bank_mask:0xf// 0000000060C0: 06A0A0FA FF0000B0
	v_subrev_f32_dpp v81, v176, v81 quad_perm:[1,1,1,1] row_mask:0xf bank_mask:0xf// 0000000060C8: 06A2A2FA FF0055B0
	v_mfma_f32_16x16x16_bf16 v[182:185], v[126:127], v[164:165], v[182:185]// 0000000060D0: D3E100B6 06DB497E
	v_subrev_f32_dpp v82, v176, v82 quad_perm:[2,2,2,2] row_mask:0xf bank_mask:0xf// 0000000060D8: 06A4A4FA FF00AAB0
	v_subrev_f32_dpp v83, v176, v83 quad_perm:[3,3,3,3] row_mask:0xf bank_mask:0xf// 0000000060E0: 06A6A6FA FF00FFB0
	v_subrev_f32_dpp v84, v176, v84 quad_perm:[0,0,0,0] row_mask:0xf bank_mask:0xf// 0000000060E8: 06A8A8FA FF0000B0
	v_subrev_f32_dpp v85, v176, v85 quad_perm:[1,1,1,1] row_mask:0xf bank_mask:0xf// 0000000060F0: 06AAAAFA FF0055B0
	v_subrev_f32_dpp v86, v176, v86 quad_perm:[2,2,2,2] row_mask:0xf bank_mask:0xf// 0000000060F8: 06ACACFA FF00AAB0
	v_subrev_f32_dpp v87, v176, v87 quad_perm:[3,3,3,3] row_mask:0xf bank_mask:0xf// 000000006100: 06AEAEFA FF00FFB0
	v_mfma_f32_16x16x16_bf16 v[186:189], v[128:129], v[164:165], v[186:189]// 000000006108: D3E100BA 06EB4980
	v_mul_f32_e32 v76, v52, v76                                // 000000006110: 0A989934
	v_mul_f32_e32 v77, v53, v77                                // 000000006114: 0A9A9B35
	v_mul_f32_e32 v78, v54, v78                                // 000000006118: 0A9C9D36
	v_mul_f32_e32 v79, v55, v79                                // 00000000611C: 0A9E9F37
	v_mul_f32_e32 v80, v56, v80                                // 000000006120: 0AA0A138
	v_mul_f32_e32 v81, v57, v81                                // 000000006124: 0AA2A339
	v_mfma_f32_16x16x16_bf16 v[190:193], v[130:131], v[164:165], v[190:193]// 000000006128: D3E100BE 06FB4982
	v_mul_f32_e32 v82, v58, v82                                // 000000006130: 0AA4A53A
	v_mul_f32_e32 v83, v59, v83                                // 000000006134: 0AA6A73B
	v_mul_f32_e32 v84, v60, v84                                // 000000006138: 0AA8A93C
	v_mul_f32_e32 v85, v61, v85                                // 00000000613C: 0AAAAB3D
	v_mul_f32_e32 v86, v62, v86                                // 000000006140: 0AACAD3E
	v_mul_f32_e32 v87, v63, v87                                // 000000006144: 0AAEAF3F
	v_mfma_f32_16x16x16_bf16 v[194:197], v[124:125], v[166:167], v[194:197]// 000000006148: D3E100C2 070B4D7C
	v_cmp_u_f32_e64 s[74:75], v76, v76                         // 000000006150: D048004A 0002994C
	v_add3_u32 v226, v76, v229, 1                              // 000000006158: D1FF00E2 0207CB4C
	v_cndmask_b32_e64 v32, v226, v228, s[74:75]                // 000000006160: D1000020 012BC9E2
	v_cmp_u_f32_e64 s[74:75], v77, v77                         // 000000006168: D048004A 00029B4D
	v_add3_u32 v226, v77, v229, 1                              // 000000006170: D1FF00E2 0207CB4D
	v_cndmask_b32_e64 v33, v226, v228, s[74:75]                // 000000006178: D1000021 012BC9E2
	v_perm_b32 v76, v33, v32, s64                              // 000000006180: D1ED004C 01024121
	v_cmp_u_f32_e64 s[74:75], v78, v78                         // 000000006188: D048004A 00029D4E
	v_add3_u32 v226, v78, v229, 1                              // 000000006190: D1FF00E2 0207CB4E
	v_cndmask_b32_e64 v32, v226, v228, s[74:75]                // 000000006198: D1000020 012BC9E2
	v_cmp_u_f32_e64 s[74:75], v79, v79                         // 0000000061A0: D048004A 00029F4F
	v_add3_u32 v226, v79, v229, 1                              // 0000000061A8: D1FF00E2 0207CB4F
	v_cndmask_b32_e64 v33, v226, v228, s[74:75]                // 0000000061B0: D1000021 012BC9E2
	v_perm_b32 v77, v33, v32, s64                              // 0000000061B8: D1ED004D 01024121
	v_cmp_u_f32_e64 s[74:75], v80, v80                         // 0000000061C0: D048004A 0002A150
	v_add3_u32 v226, v80, v229, 1                              // 0000000061C8: D1FF00E2 0207CB50
	v_cndmask_b32_e64 v32, v226, v228, s[74:75]                // 0000000061D0: D1000020 012BC9E2
	v_cmp_u_f32_e64 s[74:75], v81, v81                         // 0000000061D8: D048004A 0002A351
	v_add3_u32 v226, v81, v229, 1                              // 0000000061E0: D1FF00E2 0207CB51
	v_cndmask_b32_e64 v33, v226, v228, s[74:75]                // 0000000061E8: D1000021 012BC9E2
	v_perm_b32 v78, v33, v32, s64                              // 0000000061F0: D1ED004E 01024121
	v_cmp_u_f32_e64 s[74:75], v82, v82                         // 0000000061F8: D048004A 0002A552
	v_add3_u32 v226, v82, v229, 1                              // 000000006200: D1FF00E2 0207CB52
	v_cndmask_b32_e64 v32, v226, v228, s[74:75]                // 000000006208: D1000020 012BC9E2
	v_cmp_u_f32_e64 s[74:75], v83, v83                         // 000000006210: D048004A 0002A753
	v_add3_u32 v226, v83, v229, 1                              // 000000006218: D1FF00E2 0207CB53
	v_cndmask_b32_e64 v33, v226, v228, s[74:75]                // 000000006220: D1000021 012BC9E2
	v_perm_b32 v79, v33, v32, s64                              // 000000006228: D1ED004F 01024121
	v_cmp_u_f32_e64 s[74:75], v84, v84                         // 000000006230: D048004A 0002A954
	v_add3_u32 v226, v84, v229, 1                              // 000000006238: D1FF00E2 0207CB54
	v_cndmask_b32_e64 v32, v226, v228, s[74:75]                // 000000006240: D1000020 012BC9E2
	v_cmp_u_f32_e64 s[74:75], v85, v85                         // 000000006248: D048004A 0002AB55
	v_add3_u32 v226, v85, v229, 1                              // 000000006250: D1FF00E2 0207CB55
	v_cndmask_b32_e64 v33, v226, v228, s[74:75]                // 000000006258: D1000021 012BC9E2
	v_perm_b32 v80, v33, v32, s64                              // 000000006260: D1ED0050 01024121
	v_cmp_u_f32_e64 s[74:75], v86, v86                         // 000000006268: D048004A 0002AD56
	v_add3_u32 v226, v86, v229, 1                              // 000000006270: D1FF00E2 0207CB56
	v_cndmask_b32_e64 v32, v226, v228, s[74:75]                // 000000006278: D1000020 012BC9E2
	v_cmp_u_f32_e64 s[74:75], v87, v87                         // 000000006280: D048004A 0002AF57
	v_add3_u32 v226, v87, v229, 1                              // 000000006288: D1FF00E2 0207CB57
	v_cndmask_b32_e64 v33, v226, v228, s[74:75]                // 000000006290: D1000021 012BC9E2
	v_perm_b32 v81, v33, v32, s64                              // 000000006298: D1ED0051 01024121
	v_mfma_f32_16x16x16_bf16 v[198:201], v[126:127], v[166:167], v[198:201]// 0000000062A0: D3E100C6 071B4D7E
	v_mov_b32_dpp v18, v76 quad_perm:[1,0,3,2] row_mask:0xf bank_mask:0xf// 0000000062A8: 7E2402FA FF00B14C
	v_perm_b32 v52, v18, v76, v17                              // 0000000062B0: D1ED0034 04469912
	v_mov_b32_dpp v18, v77 quad_perm:[1,0,3,2] row_mask:0xf bank_mask:0xf// 0000000062B8: 7E2402FA FF00B14D
	v_perm_b32 v53, v18, v77, v17                              // 0000000062C0: D1ED0035 04469B12
	v_mov_b32_dpp v18, v78 quad_perm:[1,0,3,2] row_mask:0xf bank_mask:0xf// 0000000062C8: 7E2402FA FF00B14E
	v_perm_b32 v54, v18, v78, v17                              // 0000000062D0: D1ED0036 04469D12
	v_mfma_f32_16x16x16_bf16 v[202:205], v[128:129], v[166:167], v[202:205]// 0000000062D8: D3E100CA 072B4D80
	v_mov_b32_dpp v18, v79 quad_perm:[1,0,3,2] row_mask:0xf bank_mask:0xf// 0000000062E0: 7E2402FA FF00B14F
	v_perm_b32 v55, v18, v79, v17                              // 0000000062E8: D1ED0037 04469F12
	v_mov_b32_dpp v18, v80 quad_perm:[1,0,3,2] row_mask:0xf bank_mask:0xf// 0000000062F0: 7E2402FA FF00B150
	v_perm_b32 v56, v18, v80, v17                              // 0000000062F8: D1ED0038 0446A112
	v_mov_b32_dpp v18, v81 quad_perm:[1,0,3,2] row_mask:0xf bank_mask:0xf// 000000006300: 7E2402FA FF00B151
	v_perm_b32 v57, v18, v81, v17                              // 000000006308: D1ED0039 0446A312
	v_mfma_f32_16x16x16_bf16 v[206:209], v[130:131], v[166:167], v[206:209]// 000000006310: D3E100CE 073B4D82
	ds_write_b32 v20, v52 offset:17408                         // 000000006318: D81A4400 00003414
	ds_write_b32 v20, v53 offset:17952                         // 000000006320: D81A4620 00003514
	v_mfma_f32_16x16x16_bf16 v[210:213], v[124:125], v[168:169], v[210:213]// 000000006328: D3E100D2 074B517C
	v_subrev_f32_dpp v88, v177, v88 quad_perm:[0,0,0,0] row_mask:0xf bank_mask:0xf// 000000006330: 06B0B0FA FF0000B1
	v_subrev_f32_dpp v89, v177, v89 quad_perm:[1,1,1,1] row_mask:0xf bank_mask:0xf// 000000006338: 06B2B2FA FF0055B1
	v_subrev_f32_dpp v90, v177, v90 quad_perm:[2,2,2,2] row_mask:0xf bank_mask:0xf// 000000006340: 06B4B4FA FF00AAB1
	v_subrev_f32_dpp v91, v177, v91 quad_perm:[3,3,3,3] row_mask:0xf bank_mask:0xf// 000000006348: 06B6B6FA FF00FFB1
	v_subrev_f32_dpp v92, v177, v92 quad_perm:[0,0,0,0] row_mask:0xf bank_mask:0xf// 000000006350: 06B8B8FA FF0000B1
	v_subrev_f32_dpp v93, v177, v93 quad_perm:[1,1,1,1] row_mask:0xf bank_mask:0xf// 000000006358: 06BABAFA FF0055B1
	v_mfma_f32_16x16x16_bf16 v[214:217], v[126:127], v[168:169], v[214:217]// 000000006360: D3E100D6 075B517E
	ds_write_b32 v20, v54 offset:19712                         // 000000006368: D81A4D00 00003614
	ds_write_b32 v20, v55 offset:20256                         // 000000006370: D81A4F20 00003714
	v_mfma_f32_16x16x16_bf16 v[218:221], v[128:129], v[168:169], v[218:221]// 000000006378: D3E100DA 076B5180
	v_subrev_f32_dpp v94, v177, v94 quad_perm:[2,2,2,2] row_mask:0xf bank_mask:0xf// 000000006380: 06BCBCFA FF00AAB1
	v_subrev_f32_dpp v95, v177, v95 quad_perm:[3,3,3,3] row_mask:0xf bank_mask:0xf// 000000006388: 06BEBEFA FF00FFB1
	v_subrev_f32_dpp v96, v177, v96 quad_perm:[0,0,0,0] row_mask:0xf bank_mask:0xf// 000000006390: 06C0C0FA FF0000B1
	v_subrev_f32_dpp v97, v177, v97 quad_perm:[1,1,1,1] row_mask:0xf bank_mask:0xf// 000000006398: 06C2C2FA FF0055B1
	v_subrev_f32_dpp v98, v177, v98 quad_perm:[2,2,2,2] row_mask:0xf bank_mask:0xf// 0000000063A0: 06C4C4FA FF00AAB1
	v_subrev_f32_dpp v99, v177, v99 quad_perm:[3,3,3,3] row_mask:0xf bank_mask:0xf// 0000000063A8: 06C6C6FA FF00FFB1
	v_mfma_f32_16x16x16_bf16 v[222:225], v[130:131], v[168:169], v[222:225]// 0000000063B0: D3E100DE 077B5182
	ds_write_b32 v20, v56 offset:22016                         // 0000000063B8: D81A5600 00003814
	ds_write_b32 v20, v57 offset:22560                         // 0000000063C0: D81A5820 00003914
	v_mfma_f32_16x16x16_bf16 v[178:181], v[132:133], v[170:171], v[178:181]// 0000000063C8: D3E100B2 06CB5584
	v_mul_f32_e32 v88, v64, v88                                // 0000000063D0: 0AB0B140
	v_mul_f32_e32 v89, v65, v89                                // 0000000063D4: 0AB2B341
	v_mul_f32_e32 v90, v66, v90                                // 0000000063D8: 0AB4B542
	v_mul_f32_e32 v91, v67, v91                                // 0000000063DC: 0AB6B743
	v_mul_f32_e32 v92, v68, v92                                // 0000000063E0: 0AB8B944
	v_mul_f32_e32 v93, v69, v93                                // 0000000063E4: 0ABABB45
	v_mfma_f32_16x16x16_bf16 v[182:185], v[134:135], v[170:171], v[182:185]// 0000000063E8: D3E100B6 06DB5586
	v_mul_f32_e32 v94, v70, v94                                // 0000000063F0: 0ABCBD46
	v_mul_f32_e32 v95, v71, v95                                // 0000000063F4: 0ABEBF47
	v_mul_f32_e32 v96, v72, v96                                // 0000000063F8: 0AC0C148
	v_mul_f32_e32 v97, v73, v97                                // 0000000063FC: 0AC2C349
	v_mul_f32_e32 v98, v74, v98                                // 000000006400: 0AC4C54A
	v_mul_f32_e32 v99, v75, v99                                // 000000006404: 0AC6C74B
	v_mfma_f32_16x16x16_bf16 v[186:189], v[136:137], v[170:171], v[186:189]// 000000006408: D3E100BA 06EB5588
	v_cmp_u_f32_e64 s[74:75], v88, v88                         // 000000006410: D048004A 0002B158
	v_add3_u32 v226, v88, v229, 1                              // 000000006418: D1FF00E2 0207CB58
	v_cndmask_b32_e64 v32, v226, v228, s[74:75]                // 000000006420: D1000020 012BC9E2
	v_cmp_u_f32_e64 s[74:75], v89, v89                         // 000000006428: D048004A 0002B359
	v_add3_u32 v226, v89, v229, 1                              // 000000006430: D1FF00E2 0207CB59
	v_cndmask_b32_e64 v33, v226, v228, s[74:75]                // 000000006438: D1000021 012BC9E2
	v_perm_b32 v82, v33, v32, s64                              // 000000006440: D1ED0052 01024121
	v_cmp_u_f32_e64 s[74:75], v90, v90                         // 000000006448: D048004A 0002B55A
	v_add3_u32 v226, v90, v229, 1                              // 000000006450: D1FF00E2 0207CB5A
	v_cndmask_b32_e64 v32, v226, v228, s[74:75]                // 000000006458: D1000020 012BC9E2
	v_cmp_u_f32_e64 s[74:75], v91, v91                         // 000000006460: D048004A 0002B75B
	v_add3_u32 v226, v91, v229, 1                              // 000000006468: D1FF00E2 0207CB5B
	v_cndmask_b32_e64 v33, v226, v228, s[74:75]                // 000000006470: D1000021 012BC9E2
	v_perm_b32 v83, v33, v32, s64                              // 000000006478: D1ED0053 01024121
	v_cmp_u_f32_e64 s[74:75], v92, v92                         // 000000006480: D048004A 0002B95C
	v_add3_u32 v226, v92, v229, 1                              // 000000006488: D1FF00E2 0207CB5C
	v_cndmask_b32_e64 v32, v226, v228, s[74:75]                // 000000006490: D1000020 012BC9E2
	v_cmp_u_f32_e64 s[74:75], v93, v93                         // 000000006498: D048004A 0002BB5D
	v_add3_u32 v226, v93, v229, 1                              // 0000000064A0: D1FF00E2 0207CB5D
	v_cndmask_b32_e64 v33, v226, v228, s[74:75]                // 0000000064A8: D1000021 012BC9E2
	v_perm_b32 v84, v33, v32, s64                              // 0000000064B0: D1ED0054 01024121
	v_cmp_u_f32_e64 s[74:75], v94, v94                         // 0000000064B8: D048004A 0002BD5E
	v_add3_u32 v226, v94, v229, 1                              // 0000000064C0: D1FF00E2 0207CB5E
	v_cndmask_b32_e64 v32, v226, v228, s[74:75]                // 0000000064C8: D1000020 012BC9E2
	v_cmp_u_f32_e64 s[74:75], v95, v95                         // 0000000064D0: D048004A 0002BF5F
	v_add3_u32 v226, v95, v229, 1                              // 0000000064D8: D1FF00E2 0207CB5F
	v_cndmask_b32_e64 v33, v226, v228, s[74:75]                // 0000000064E0: D1000021 012BC9E2
	v_perm_b32 v85, v33, v32, s64                              // 0000000064E8: D1ED0055 01024121
	v_cmp_u_f32_e64 s[74:75], v96, v96                         // 0000000064F0: D048004A 0002C160
	v_add3_u32 v226, v96, v229, 1                              // 0000000064F8: D1FF00E2 0207CB60
	v_cndmask_b32_e64 v32, v226, v228, s[74:75]                // 000000006500: D1000020 012BC9E2
	v_cmp_u_f32_e64 s[74:75], v97, v97                         // 000000006508: D048004A 0002C361
	v_add3_u32 v226, v97, v229, 1                              // 000000006510: D1FF00E2 0207CB61
	v_cndmask_b32_e64 v33, v226, v228, s[74:75]                // 000000006518: D1000021 012BC9E2
	v_perm_b32 v86, v33, v32, s64                              // 000000006520: D1ED0056 01024121
	v_cmp_u_f32_e64 s[74:75], v98, v98                         // 000000006528: D048004A 0002C562
	v_add3_u32 v226, v98, v229, 1                              // 000000006530: D1FF00E2 0207CB62
	v_cndmask_b32_e64 v32, v226, v228, s[74:75]                // 000000006538: D1000020 012BC9E2
	v_cmp_u_f32_e64 s[74:75], v99, v99                         // 000000006540: D048004A 0002C763
	v_add3_u32 v226, v99, v229, 1                              // 000000006548: D1FF00E2 0207CB63
	v_cndmask_b32_e64 v33, v226, v228, s[74:75]                // 000000006550: D1000021 012BC9E2
	v_perm_b32 v87, v33, v32, s64                              // 000000006558: D1ED0057 01024121
	v_mfma_f32_16x16x16_bf16 v[190:193], v[138:139], v[170:171], v[190:193]// 000000006560: D3E100BE 06FB558A
	v_mov_b32_dpp v18, v82 quad_perm:[1,0,3,2] row_mask:0xf bank_mask:0xf// 000000006568: 7E2402FA FF00B152
	v_perm_b32 v58, v18, v82, v17                              // 000000006570: D1ED003A 0446A512
	v_mov_b32_dpp v18, v83 quad_perm:[1,0,3,2] row_mask:0xf bank_mask:0xf// 000000006578: 7E2402FA FF00B153
	v_perm_b32 v59, v18, v83, v17                              // 000000006580: D1ED003B 0446A712
	v_mov_b32_dpp v18, v84 quad_perm:[1,0,3,2] row_mask:0xf bank_mask:0xf// 000000006588: 7E2402FA FF00B154
	v_perm_b32 v60, v18, v84, v17                              // 000000006590: D1ED003C 0446A912
	v_mfma_f32_16x16x16_bf16 v[194:197], v[132:133], v[172:173], v[194:197]// 000000006598: D3E100C2 070B5984
	v_mov_b32_dpp v18, v85 quad_perm:[1,0,3,2] row_mask:0xf bank_mask:0xf// 0000000065A0: 7E2402FA FF00B155
	v_perm_b32 v61, v18, v85, v17                              // 0000000065A8: D1ED003D 0446AB12
	v_mov_b32_dpp v18, v86 quad_perm:[1,0,3,2] row_mask:0xf bank_mask:0xf// 0000000065B0: 7E2402FA FF00B156
	v_perm_b32 v62, v18, v86, v17                              // 0000000065B8: D1ED003E 0446AD12
	v_mov_b32_dpp v18, v87 quad_perm:[1,0,3,2] row_mask:0xf bank_mask:0xf// 0000000065C0: 7E2402FA FF00B157
	v_perm_b32 v63, v18, v87, v17                              // 0000000065C8: D1ED003F 0446AF12
	v_mfma_f32_16x16x16_bf16 v[198:201], v[134:135], v[172:173], v[198:201]// 0000000065D0: D3E100C6 071B5986
	ds_write_b32 v20, v58 offset:24320                         // 0000000065D8: D81A5F00 00003A14
	ds_write_b32 v20, v59 offset:24864                         // 0000000065E0: D81A6120 00003B14
	v_mfma_f32_16x16x16_bf16 v[202:205], v[136:137], v[172:173], v[202:205]// 0000000065E8: D3E100CA 072B5988
	v_mfma_f32_16x16x16_bf16 v[206:209], v[138:139], v[172:173], v[206:209]// 0000000065F0: D3E100CE 073B598A
	ds_write_b32 v20, v60 offset:26624                         // 0000000065F8: D81A6800 00003C14
	ds_write_b32 v20, v61 offset:27168                         // 000000006600: D81A6A20 00003D14
	ds_write_b32 v20, v62 offset:28928                         // 000000006608: D81A7100 00003E14
	ds_write_b32 v20, v63 offset:29472                         // 000000006610: D81A7320 00003F14
	v_mfma_f32_16x16x16_bf16 v[210:213], v[132:133], v[174:175], v[210:213]// 000000006618: D3E100D2 074B5D84
	v_mfma_f32_16x16x16_bf16 v[214:217], v[134:135], v[174:175], v[214:217]// 000000006620: D3E100D6 075B5D86
	ds_write_b32 v15, v100 offset:4352                         // 000000006628: D81A1100 0000640F
	ds_write_b32 v15, v101 offset:5408                         // 000000006630: D81A1520 0000650F
	v_mfma_f32_16x16x16_bf16 v[218:221], v[136:137], v[174:175], v[218:221]// 000000006638: D3E100DA 076B5D88
	s_nop 0                                                    // 000000006640: BF800000
	s_nop 0                                                    // 000000006644: BF800000
	;; [unrolled: 1-line block ×3, first 2 shown]
	v_mfma_f32_16x16x16_bf16 v[222:225], v[138:139], v[174:175], v[222:225]// 00000000664C: D3E100DE 077B5D8A
	ds_write_b32 v15, v102 offset:6528                         // 000000006654: D81A1980 0000660F
	ds_write_b32 v15, v103 offset:7584                         // 00000000665C: D81A1DA0 0000670F
	s_barrier                                                  // 000000006664: BF8A0000
	v_mfma_f32_16x16x16_bf16 a[112:115], a[96:97], v[76:77], a[112:115]// 000000006668: D3E18070 0DC29960
	buffer_atomic_add_f32 v156, v6, s[32:35], 0 idxen          // 000000006670: E1342000 80089C06
	v_mfma_f32_16x16x16_bf16 a[116:119], a[98:99], v[76:77], a[116:119]// 000000006678: D3E18074 0DD29962
	ds_read_b32 v140, v23 offset:39936                         // 000000006680: D86C9C00 8C000017
	ds_read_b32 v144, v23 offset:40000                         // 000000006688: D86C9C40 90000017
	ds_read_b32 v176, v23 offset:40192                         // 000000006690: D86C9D00 B0000017
	ds_read_b32 v177, v23 offset:40256                         // 000000006698: D86C9D40 B1000017
	v_mfma_f32_16x16x16_bf16 a[120:123], a[100:101], v[76:77], a[120:123]// 0000000066A0: D3E18078 0DE29964
	s_waitcnt lgkmcnt(8)                                       // 0000000066A8: BF8CC87F
	s_barrier                                                  // 0000000066AC: BF8A0000
	v_mfma_f32_16x16x16_bf16 a[124:127], a[102:103], v[76:77], a[124:127]// 0000000066B0: D3E1807C 0DF29966
	ds_read_b128 v[52:55], v19 offset:17408                    // 0000000066B8: D9FE4400 34000013
	v_mfma_f32_16x16x16_bf16 a[128:131], a[96:97], v[78:79], a[128:131]// 0000000066C0: D3E18080 0E029D60
	v_mfma_f32_16x16x16_bf16 a[132:135], a[98:99], v[78:79], a[132:135]// 0000000066C8: D3E18084 0E129D62
	ds_read_b128 v[56:59], v19 offset:18560                    // 0000000066D0: D9FE4880 38000013
	v_mfma_f32_16x16x16_bf16 a[136:139], a[100:101], v[78:79], a[136:139]// 0000000066D8: D3E18088 0E229D64
	buffer_atomic_add_f32 v157, v7, s[32:35], 0 idxen          // 0000000066E0: E1342000 80089D07
	v_mfma_f32_16x16x16_bf16 a[140:143], a[102:103], v[78:79], a[140:143]// 0000000066E8: D3E1808C 0E329D66
	ds_read_b128 v[60:63], v19 offset:19712                    // 0000000066F0: D9FE4D00 3C000013
	v_mfma_f32_16x16x16_bf16 a[144:147], a[96:97], v[80:81], a[144:147]// 0000000066F8: D3E18090 0E42A160
	v_mfma_f32_16x16x16_bf16 a[148:151], a[98:99], v[80:81], a[148:151]// 000000006700: D3E18094 0E52A162
	ds_read_b128 v[64:67], v19 offset:20864                    // 000000006708: D9FE5180 40000013
	v_mfma_f32_16x16x16_bf16 a[152:155], a[100:101], v[80:81], a[152:155]// 000000006710: D3E18098 0E62A164
	v_mfma_f32_16x16x16_bf16 a[156:159], a[102:103], v[80:81], a[156:159]// 000000006718: D3E1809C 0E72A166
	ds_read_b128 v[68:71], v19 offset:22016                    // 000000006720: D9FE5600 44000013
	v_mfma_f32_16x16x16_bf16 a[112:115], a[104:105], v[82:83], a[112:115]// 000000006728: D3E18070 0DC2A568
	buffer_atomic_add_f32 v158, v6, s[32:35], 0 idxen offset:128// 000000006730: E1342080 80089E06
	v_mfma_f32_16x16x16_bf16 a[116:119], a[106:107], v[82:83], a[116:119]// 000000006738: D3E18074 0DD2A56A
	ds_read_b128 v[72:75], v19 offset:23168                    // 000000006740: D9FE5A80 48000013
	v_mfma_f32_16x16x16_bf16 a[120:123], a[108:109], v[82:83], a[120:123]// 000000006748: D3E18078 0DE2A56C
	v_mfma_f32_16x16x16_bf16 a[124:127], a[110:111], v[82:83], a[124:127]// 000000006750: D3E1807C 0DF2A56E
	ds_write_b32 v15, v104 offset:13056                        // 000000006758: D81A3300 0000680F
	v_mfma_f32_16x16x16_bf16 a[128:131], a[104:105], v[84:85], a[128:131]// 000000006760: D3E18080 0E02A968
	v_mfma_f32_16x16x16_bf16 a[132:135], a[106:107], v[84:85], a[132:135]// 000000006768: D3E18084 0E12A96A
	ds_write_b32 v15, v105 offset:14112                        // 000000006770: D81A3720 0000690F
	v_mfma_f32_16x16x16_bf16 a[136:139], a[108:109], v[84:85], a[136:139]// 000000006778: D3E18088 0E22A96C
	buffer_atomic_add_f32 v159, v7, s[32:35], 0 idxen offset:128// 000000006780: E1342080 80089F07
	v_mfma_f32_16x16x16_bf16 a[140:143], a[110:111], v[84:85], a[140:143]// 000000006788: D3E1808C 0E32A96E
	ds_write_b32 v15, v106 offset:15232                        // 000000006790: D81A3B80 00006A0F
	v_mfma_f32_16x16x16_bf16 a[144:147], a[104:105], v[86:87], a[144:147]// 000000006798: D3E18090 0E42AD68
	v_mfma_f32_16x16x16_bf16 a[148:151], a[106:107], v[86:87], a[148:151]// 0000000067A0: D3E18094 0E52AD6A
	ds_write_b32 v15, v107 offset:16288                        // 0000000067A8: D81A3FA0 00006B0F
	v_mfma_f32_16x16x16_bf16 a[152:155], a[108:109], v[86:87], a[152:155]// 0000000067B0: D3E18098 0E62AD6C
	v_mfma_f32_16x16x16_bf16 a[156:159], a[110:111], v[86:87], a[156:159]// 0000000067B8: D3E1809C 0E72AD6E
	s_waitcnt vmcnt(8) lgkmcnt(4)                              // 0000000067C0: BF8C0478
	s_barrier                                                  // 0000000067C4: BF8A0000
	v_mfma_f32_16x16x16_bf16 v[148:151], v[52:53], a[24:25], 0 // 0000000067C8: D3E10094 12023134
	v_mul_f32_e32 v140, s48, v140                              // 0000000067D0: 0B191830
	v_mul_f32_e32 v144, s48, v144                              // 0000000067D4: 0B212030
	s_nop 0                                                    // 0000000067D8: BF800000
	v_mfma_f32_16x16x16_bf16 v[148:151], v[54:55], a[28:29], v[148:151]// 0000000067DC: D3E10094 16523936
	ds_read_b128 a[96:99], v12                                 // 0000000067E4: DBFE0000 6000000C
	buffer_load_dword v40, v1, s[8:11], 0 idxen                // 0000000067EC: E0502000 80022801
	v_mfma_f32_16x16x16_bf16 v[148:151], v[56:57], a[32:33], v[148:151]// 0000000067F4: D3E10094 16524138
	v_mfma_f32_16x16x16_bf16 v[148:151], v[58:59], a[36:37], v[148:151]// 0000000067FC: D3E10094 1652493A
	ds_read_b128 a[100:103], v12 offset:512                    // 000000006804: DBFE0200 6400000C
	buffer_load_dword v41, v2, s[8:11], 0 idxen                // 00000000680C: E0502000 80022902
	v_mfma_f32_16x16x16_bf16 v[148:151], v[60:61], a[40:41], v[148:151]// 000000006814: D3E10094 1652513C
	v_perm_b32 v100, v37, v36, s63                             // 00000000681C: D1ED0064 00FE4925
	v_perm_b32 v101, v37, v36, s64                             // 000000006824: D1ED0065 01024925
	v_mfma_f32_16x16x16_bf16 v[148:151], v[62:63], a[44:45], v[148:151]// 00000000682C: D3E10094 1652593E
	ds_read_b128 a[104:107], v12 offset:2176                   // 000000006834: DBFE0880 6800000C
	buffer_load_dword v42, v3, s[8:11], 0 idxen                // 00000000683C: E0502000 80022A03
	v_mfma_f32_16x16x16_bf16 v[148:151], v[64:65], a[48:49], v[148:151]// 000000006844: D3E10094 16526140
	v_perm_b32 v102, v39, v38, s63                             // 00000000684C: D1ED0066 00FE4D27
	v_perm_b32 v103, v39, v38, s64                             // 000000006854: D1ED0067 01024D27
	v_mfma_f32_16x16x16_bf16 v[148:151], v[66:67], a[52:53], v[148:151]// 00000000685C: D3E10094 16526942
	ds_read_b128 a[108:111], v12 offset:2688                   // 000000006864: DBFE0A80 6C00000C
	buffer_load_dword v43, v4, s[8:11], 0 idxen                // 00000000686C: E0502000 80022B04
	v_mfma_f32_16x16x16_bf16 v[148:151], v[68:69], a[56:57], v[148:151]// 000000006874: D3E10094 16527144
	v_perm_b32 v104, v45, v44, s63                             // 00000000687C: D1ED0068 00FE592D
	v_perm_b32 v105, v45, v44, s64                             // 000000006884: D1ED0069 0102592D
	v_mfma_f32_16x16x16_bf16 v[148:151], v[70:71], a[60:61], v[148:151]// 00000000688C: D3E10094 16527946
	ds_read_b128 v[108:111], v12 offset:8704                   // 000000006894: D9FE2200 6C00000C
	buffer_load_dword v48, v231, s[20:23], 0 idxen             // 00000000689C: E0502000 800530E7
	v_mfma_f32_16x16x16_bf16 v[148:151], v[72:73], a[64:65], v[148:151]// 0000000068A4: D3E10094 16528148
	v_perm_b32 v106, v47, v46, s63                             // 0000000068AC: D1ED006A 00FE5D2F
	v_perm_b32 v107, v47, v46, s64                             // 0000000068B4: D1ED006B 01025D2F
	v_mfma_f32_16x16x16_bf16 v[148:151], v[74:75], a[68:69], v[148:151]// 0000000068BC: D3E10094 1652894A
	ds_read_b128 v[112:115], v12 offset:9216                   // 0000000068C4: D9FE2400 7000000C
	buffer_load_dword v49, v232, s[20:23], 0 idxen             // 0000000068CC: E0502000 800531E8
	v_mfma_f32_16x16x16_bf16 v[152:155], v[52:53], a[26:27], 0 // 0000000068D4: D3E10098 12023534
	v_mov_b32_dpp v143, v140 quad_perm:[3,3,3,3] row_mask:0xf bank_mask:0xf// 0000000068DC: 7F1E02FA FF00FF8C
	v_mov_b32_dpp v142, v140 quad_perm:[2,2,2,2] row_mask:0xf bank_mask:0xf// 0000000068E4: 7F1C02FA FF00AA8C
	v_mov_b32_dpp v141, v140 quad_perm:[1,1,1,1] row_mask:0xf bank_mask:0xf// 0000000068EC: 7F1A02FA FF00558C
	v_mov_b32_dpp v140, v140 quad_perm:[0,0,0,0] row_mask:0xf bank_mask:0xf// 0000000068F4: 7F1802FA FF00008C
	v_mfma_f32_16x16x16_bf16 v[152:155], v[54:55], a[30:31], v[152:155]// 0000000068FC: D3E10098 16623D36
	ds_read_b128 v[116:119], v12 offset:10880                  // 000000006904: D9FE2A80 7400000C
	buffer_load_dword v50, v233, s[20:23], 0 idxen             // 00000000690C: E0502000 800532E9
	v_mfma_f32_16x16x16_bf16 v[152:155], v[56:57], a[34:35], v[152:155]// 000000006914: D3E10098 16624538
	v_mov_b32_dpp v147, v144 quad_perm:[3,3,3,3] row_mask:0xf bank_mask:0xf// 00000000691C: 7F2602FA FF00FF90
	v_mov_b32_dpp v146, v144 quad_perm:[2,2,2,2] row_mask:0xf bank_mask:0xf// 000000006924: 7F2402FA FF00AA90
	v_mov_b32_dpp v145, v144 quad_perm:[1,1,1,1] row_mask:0xf bank_mask:0xf// 00000000692C: 7F2202FA FF005590
	v_mov_b32_dpp v144, v144 quad_perm:[0,0,0,0] row_mask:0xf bank_mask:0xf// 000000006934: 7F2002FA FF000090
	s_add_u32 s60, 0x80, s59                                   // 00000000693C: 803C3BFF 00000080
	v_mfma_f32_16x16x16_bf16 v[152:155], v[58:59], a[38:39], v[152:155]// 000000006944: D3E10098 16624D3A
	ds_read_b128 v[120:123], v12 offset:11392                  // 00000000694C: D9FE2C80 7800000C
	buffer_load_dword v51, v234, s[20:23], 0 idxen             // 000000006954: E0502000 800533EA
	v_mfma_f32_16x16x16_bf16 v[152:155], v[60:61], a[42:43], v[152:155]// 00000000695C: D3E10098 1662553C
	s_cmp_lt_u32 s60, s58                                      // 000000006964: BF0A3A3C
	s_cselect_b32 s68, s68, 0                                  // 000000006968: 85448044
	s_cselect_b32 s95, s95, 0                                  // 00000000696C: 855F805F
	s_cselect_b32 s69, s69, 0                                  // 000000006970: 85458045
	v_mfma_f32_16x16x16_bf16 v[152:155], v[62:63], a[46:47], v[152:155]// 000000006974: D3E10098 16625D3E
	buffer_load_dword v11, s[24:27], 0 idxen lds               // 00000000697C: E0512000 8006000B
	v_mfma_f32_16x16x16_bf16 v[152:155], v[64:65], a[50:51], v[152:155]// 000000006984: D3E10098 16626540
	v_add_u32_e32 v1, s68, v1                                  // 00000000698C: 68020244
	v_add_u32_e32 v2, s68, v2                                  // 000000006990: 68040444
	v_add_u32_e32 v3, s68, v3                                  // 000000006994: 68060644
	;; [unrolled: 1-line block ×3, first 2 shown]
	v_mfma_f32_16x16x16_bf16 v[152:155], v[66:67], a[54:55], v[152:155]// 00000000699C: D3E10098 16626D42
	v_add_u32_e32 v231, s95, v231                              // 0000000069A4: 69CFCE5F
	v_add_u32_e32 v232, s95, v232                              // 0000000069A8: 69D1D05F
	v_add_u32_e32 v233, s95, v233                              // 0000000069AC: 69D3D25F
	v_add_u32_e32 v234, s95, v234                              // 0000000069B0: 69D5D45F
	v_mfma_f32_16x16x16_bf16 v[152:155], v[68:69], a[58:59], v[152:155]// 0000000069B4: D3E10098 16627544
	s_mov_b32 m0, s76                                          // 0000000069BC: BEFC004C
	v_add_u32_e32 v11, s69, v11                                // 0000000069C0: 68161645
	v_mfma_f32_16x16x16_bf16 v[152:155], v[70:71], a[62:63], v[152:155]// 0000000069C4: D3E10098 16627D46
	s_cmp_ge_u32 s59, 32                                       // 0000000069CC: BF09A03B
	s_cselect_b32 s66, s67, s66                                // 0000000069D0: 85424243
	v_mfma_f32_16x16x16_bf16 v[152:155], v[72:73], a[66:67], v[152:155]// 0000000069D4: D3E10098 16628548
	s_addk_i32 s59, 0x20                                       // 0000000069DC: B73B0020
	s_nop 0                                                    // 0000000069E0: BF800000
	s_cmp_lt_i32 s59, s58                                      // 0000000069E4: BF043A3B
	v_mfma_f32_16x16x16_bf16 v[152:155], v[74:75], a[70:71], v[152:155]// 0000000069E8: D3E10098 16628D4A
	s_cbranch_scc0 label_0EF1                                  // 0000000069F0: BF840462
	s_waitcnt lgkmcnt(0)                                       // 0000000069F4: BF8CC07F
	s_barrier                                                  // 0000000069F8: BF8A0000
	v_mfma_f32_16x16x16_bf16 v[52:55], a[96:97], a[0:1], 0     // 0000000069FC: D3E10034 1A020160
	ds_write_b32 v13, v44 offset:8704                          // 000000006A04: D81A2200 00002C0D
	ds_write_b32 v13, v45 offset:9760                          // 000000006A0C: D81A2620 00002D0D
	v_mfma_f32_16x16x16_bf16 v[52:55], a[98:99], a[2:3], v[52:55]// 000000006A14: D3E10034 1CD20562
	v_mul_f32_e32 v148, s47, v148                              // 000000006A1C: 0B29282F
	v_mul_f32_e32 v149, s47, v149                              // 000000006A20: 0B2B2A2F
	v_mfma_f32_16x16x16_bf16 v[52:55], a[100:101], a[4:5], v[52:55]// 000000006A24: D3E10034 1CD20964
	ds_write_b32 v13, v46 offset:10880                         // 000000006A2C: D81A2A80 00002E0D
	ds_write_b32 v13, v47 offset:11936                         // 000000006A34: D81A2EA0 00002F0D
	v_mfma_f32_16x16x16_bf16 v[52:55], a[102:103], a[6:7], v[52:55]// 000000006A3C: D3E10034 1CD20D66
	v_mul_f32_e32 v150, s47, v150                              // 000000006A44: 0B2D2C2F
	v_mul_f32_e32 v151, s47, v151                              // 000000006A48: 0B2F2E2F
	v_mfma_f32_16x16x16_bf16 v[56:59], a[96:97], a[8:9], 0     // 000000006A4C: D3E10038 1A021160
	ds_write_b64 v22, v[148:149] offset:31232                  // 000000006A54: D89A7A00 00009416
	v_mfma_f32_16x16x16_bf16 v[56:59], a[98:99], a[10:11], v[56:59]// 000000006A5C: D3E10038 1CE21562
	v_mul_f32_e32 v152, s47, v152                              // 000000006A64: 0B31302F
	v_mul_f32_e32 v153, s47, v153                              // 000000006A68: 0B33322F
	v_mfma_f32_16x16x16_bf16 v[56:59], a[100:101], a[12:13], v[56:59]// 000000006A6C: D3E10038 1CE21964
	ds_write_b64 v22, v[150:151] offset:31744                  // 000000006A74: D89A7C00 00009616
	v_mfma_f32_16x16x16_bf16 v[56:59], a[102:103], a[14:15], v[56:59]// 000000006A7C: D3E10038 1CE21D66
	v_mul_f32_e32 v154, s47, v154                              // 000000006A84: 0B35342F
	v_mul_f32_e32 v155, s47, v155                              // 000000006A88: 0B37362F
	v_mfma_f32_16x16x16_bf16 v[60:63], a[96:97], a[16:17], 0   // 000000006A8C: D3E1003C 1A022160
	ds_write_b64 v22, v[152:153] offset:32256                  // 000000006A94: D89A7E00 00009816
	v_mfma_f32_16x16x16_bf16 v[60:63], a[98:99], a[18:19], v[60:63]// 000000006A9C: D3E1003C 1CF22562
	buffer_atomic_add_f32 v160, v8, s[32:35], 0 idxen          // 000000006AA4: E1342000 8008A008
	v_mfma_f32_16x16x16_bf16 v[60:63], a[100:101], a[20:21], v[60:63]// 000000006AAC: D3E1003C 1CF22964
	ds_write_b64 v22, v[154:155] offset:32768                  // 000000006AB4: D89A8000 00009A16
	v_mfma_f32_16x16x16_bf16 v[60:63], a[102:103], a[22:23], v[60:63]// 000000006ABC: D3E1003C 1CF22D66
	v_mfma_f32_16x16x16_bf16 v[64:67], a[104:105], a[0:1], 0   // 000000006AC4: D3E10040 1A020168
	ds_read_b128 v[124:127], v14 offset:13056                  // 000000006ACC: D9FE3300 7C00000E
	ds_write_b32 v13, v36                                      // 000000006AD4: D81A0000 0000240D
	v_mfma_f32_16x16x16_bf16 v[64:67], a[106:107], a[2:3], v[64:67]// 000000006ADC: D3E10040 1D02056A
	buffer_atomic_add_f32 v161, v9, s[32:35], 0 idxen          // 000000006AE4: E1342000 8008A109
	v_mfma_f32_16x16x16_bf16 v[64:67], a[108:109], a[4:5], v[64:67]// 000000006AEC: D3E10040 1D02096C
	v_mfma_f32_16x16x16_bf16 v[64:67], a[110:111], a[6:7], v[64:67]// 000000006AF4: D3E10040 1D020D6E
	ds_read_b128 v[128:131], v14 offset:13568                  // 000000006AFC: D9FE3500 8000000E
	ds_write_b32 v13, v37 offset:1056                          // 000000006B04: D81A0420 0000250D
	v_mfma_f32_16x16x16_bf16 v[68:71], a[104:105], a[8:9], 0   // 000000006B0C: D3E10044 1A021168
	buffer_atomic_add_f32 v162, v8, s[32:35], 0 idxen offset:128// 000000006B14: E1342080 8008A208
	v_mfma_f32_16x16x16_bf16 v[68:71], a[106:107], a[10:11], v[68:71]// 000000006B1C: D3E10044 1D12156A
	v_mfma_f32_16x16x16_bf16 v[68:71], a[108:109], a[12:13], v[68:71]// 000000006B24: D3E10044 1D12196C
	ds_read_b128 v[132:135], v14 offset:15232                  // 000000006B2C: D9FE3B80 8400000E
	ds_write_b32 v13, v38 offset:2176                          // 000000006B34: D81A0880 0000260D
	v_mfma_f32_16x16x16_bf16 v[68:71], a[110:111], a[14:15], v[68:71]// 000000006B3C: D3E10044 1D121D6E
	v_mfma_f32_16x16x16_bf16 v[72:75], a[104:105], a[16:17], 0 // 000000006B44: D3E10048 1A022168
	buffer_atomic_add_f32 v163, v9, s[32:35], 0 idxen offset:128// 000000006B4C: E1342080 8008A309
	v_mfma_f32_16x16x16_bf16 v[72:75], a[106:107], a[18:19], v[72:75]// 000000006B54: D3E10048 1D22256A
	ds_read_b128 v[136:139], v14 offset:15744                  // 000000006B5C: D9FE3D80 8800000E
	ds_write_b32 v13, v39 offset:3232                          // 000000006B64: D81A0CA0 0000270D
	v_mfma_f32_16x16x16_bf16 v[72:75], a[108:109], a[20:21], v[72:75]// 000000006B6C: D3E10048 1D22296C
	v_mfma_f32_16x16x16_bf16 v[72:75], a[110:111], a[22:23], v[72:75]// 000000006B74: D3E10048 1D222D6E
	s_cmp_lt_i32 s97, 0xc0                                     // 000000006B7C: BF04FF61 000000C0
	s_cbranch_scc0 label_0B61                                  // 000000006B84: BF84006D
	s_cmp_le_i32 s97, 64                                       // 000000006B88: BF05C061
	s_cbranch_scc1 label_0AF4                                  // 000000006B8C: BF850007
	s_cmp_le_i32 s97, 0x80                                     // 000000006B90: BF05FF61 00000080
	s_cbranch_scc1 label_0B18                                  // 000000006B98: BF85001F
	s_cmp_lt_i32 s97, 0xc0                                     // 000000006B9C: BF04FF61 000000C0
	s_cbranch_scc1 label_0B3C                                  // 000000006BA4: BF850040
	s_branch label_0B61                                        // 000000006BA8: BF820064

0000000000006bac <label_0AF4>:
	s_mov_b32 s60, 0                                           // 000000006BAC: BEBC0080
	v_and_b32_e32 v32, 15, v0                                  // 000000006BB0: 2640008F
	v_add_u32_e64 v32, v32, s60                                // 000000006BB4: D1340020 00007920
	v_mul_i32_i24_e64 v33, s46, 16                             // 000000006BBC: D1060021 0001202E
	v_add_u32_e32 v32, v32, v33                                // 000000006BC4: 68404320
	v_cmp_lt_u32_e64 s[60:61], v32, s97                        // 000000006BC8: D0C9003C 0000C320
	s_nop 1                                                    // 000000006BD0: BF800001
	v_cndmask_b32_e64 v52, v230, v52, s[60:61]                 // 000000006BD4: D1000034 00F269E6
	v_cndmask_b32_e64 v64, v230, v64, s[60:61]                 // 000000006BDC: D1000040 00F281E6
	v_cndmask_b32_e64 v53, v230, v53, s[60:61]                 // 000000006BE4: D1000035 00F26BE6
	v_cndmask_b32_e64 v65, v230, v65, s[60:61]                 // 000000006BEC: D1000041 00F283E6
	v_cndmask_b32_e64 v54, v230, v54, s[60:61]                 // 000000006BF4: D1000036 00F26DE6
	v_cndmask_b32_e64 v66, v230, v66, s[60:61]                 // 000000006BFC: D1000042 00F285E6
	v_cndmask_b32_e64 v55, v230, v55, s[60:61]                 // 000000006C04: D1000037 00F26FE6
	v_cndmask_b32_e64 v67, v230, v67, s[60:61]                 // 000000006C0C: D1000043 00F287E6
	s_branch label_0B33                                        // 000000006C14: BF82001B

0000000000006c18 <label_0B18>:
	s_mov_b32 s60, 64                                          // 000000006C18: BEBC00C0
	v_and_b32_e32 v32, 15, v0                                  // 000000006C1C: 2640008F
	v_add_u32_e64 v32, v32, s60                                // 000000006C20: D1340020 00007920
	v_mul_i32_i24_e64 v33, s46, 16                             // 000000006C28: D1060021 0001202E
	v_add_u32_e32 v32, v32, v33                                // 000000006C30: 68404320
	v_cmp_lt_u32_e64 s[60:61], v32, s97                        // 000000006C34: D0C9003C 0000C320
	s_nop 1                                                    // 000000006C3C: BF800001
	v_cndmask_b32_e64 v56, v230, v56, s[60:61]                 // 000000006C40: D1000038 00F271E6
	v_cndmask_b32_e64 v68, v230, v68, s[60:61]                 // 000000006C48: D1000044 00F289E6
	v_cndmask_b32_e64 v57, v230, v57, s[60:61]                 // 000000006C50: D1000039 00F273E6
	v_cndmask_b32_e64 v69, v230, v69, s[60:61]                 // 000000006C58: D1000045 00F28BE6
	v_cndmask_b32_e64 v58, v230, v58, s[60:61]                 // 000000006C60: D100003A 00F275E6
	v_cndmask_b32_e64 v70, v230, v70, s[60:61]                 // 000000006C68: D1000046 00F28DE6
	v_cndmask_b32_e64 v59, v230, v59, s[60:61]                 // 000000006C70: D100003B 00F277E6
	v_cndmask_b32_e64 v71, v230, v71, s[60:61]                 // 000000006C78: D1000047 00F28FE6
	s_branch label_0B58                                        // 000000006C80: BF820025

0000000000006c84 <label_0B33>:
	v_mov_b32_e32 v56, v230                                    // 000000006C84: 7E7003E6
	v_mov_b32_e32 v68, v230                                    // 000000006C88: 7E8803E6
	v_mov_b32_e32 v57, v230                                    // 000000006C8C: 7E7203E6
	v_mov_b32_e32 v69, v230                                    // 000000006C90: 7E8A03E6
	v_mov_b32_e32 v58, v230                                    // 000000006C94: 7E7403E6
	v_mov_b32_e32 v70, v230                                    // 000000006C98: 7E8C03E6
	v_mov_b32_e32 v59, v230                                    // 000000006C9C: 7E7603E6
	v_mov_b32_e32 v71, v230                                    // 000000006CA0: 7E8E03E6
	s_branch label_0B58                                        // 000000006CA4: BF82001C

0000000000006ca8 <label_0B3C>:
	s_mov_b32 s60, 0x80                                        // 000000006CA8: BEBC00FF 00000080
	v_and_b32_e32 v32, 15, v0                                  // 000000006CB0: 2640008F
	v_add_u32_e64 v32, v32, s60                                // 000000006CB4: D1340020 00007920
	v_mul_i32_i24_e64 v33, s46, 16                             // 000000006CBC: D1060021 0001202E
	v_add_u32_e32 v32, v32, v33                                // 000000006CC4: 68404320
	v_cmp_lt_u32_e64 s[60:61], v32, s97                        // 000000006CC8: D0C9003C 0000C320
	s_nop 1                                                    // 000000006CD0: BF800001
	v_cndmask_b32_e64 v60, v230, v60, s[60:61]                 // 000000006CD4: D100003C 00F279E6
	v_cndmask_b32_e64 v72, v230, v72, s[60:61]                 // 000000006CDC: D1000048 00F291E6
	v_cndmask_b32_e64 v61, v230, v61, s[60:61]                 // 000000006CE4: D100003D 00F27BE6
	v_cndmask_b32_e64 v73, v230, v73, s[60:61]                 // 000000006CEC: D1000049 00F293E6
	v_cndmask_b32_e64 v62, v230, v62, s[60:61]                 // 000000006CF4: D100003E 00F27DE6
	v_cndmask_b32_e64 v74, v230, v74, s[60:61]                 // 000000006CFC: D100004A 00F295E6
	v_cndmask_b32_e64 v63, v230, v63, s[60:61]                 // 000000006D04: D100003F 00F27FE6
	v_cndmask_b32_e64 v75, v230, v75, s[60:61]                 // 000000006D0C: D100004B 00F297E6
	s_branch label_0B61                                        // 000000006D14: BF820009

0000000000006d18 <label_0B58>:
	v_mov_b32_e32 v60, v230                                    // 000000006D18: 7E7803E6
	v_mov_b32_e32 v72, v230                                    // 000000006D1C: 7E9003E6
	v_mov_b32_e32 v61, v230                                    // 000000006D20: 7E7A03E6
	v_mov_b32_e32 v73, v230                                    // 000000006D24: 7E9203E6
	v_mov_b32_e32 v62, v230                                    // 000000006D28: 7E7C03E6
	v_mov_b32_e32 v74, v230                                    // 000000006D2C: 7E9403E6
	v_mov_b32_e32 v63, v230                                    // 000000006D30: 7E7E03E6
	v_mov_b32_e32 v75, v230                                    // 000000006D34: 7E9603E6
	s_branch label_0B61                                        // 000000006D38: BF820000

0000000000006d3c <label_0B61>:
	s_waitcnt lgkmcnt(8)                                       // 000000006D3C: BF8CC87F
	s_barrier                                                  // 000000006D40: BF8A0000
	v_mfma_f32_16x16x16_bf16 v[76:79], v[108:109], a[72:73], 0 // 000000006D44: D3E1004C 1202916C
	ds_read_b128 a[96:99], v14 offset:4352                     // 000000006D4C: DBFE1100 6000000E
	ds_read_b128 a[100:103], v14 offset:4864                   // 000000006D54: DBFE1300 6400000E
	v_mfma_f32_16x16x16_bf16 v[76:79], v[110:111], a[74:75], v[76:79]// 000000006D5C: D3E1004C 1532956E
	v_fma_f32 v52, v52, s57, -v140                             // 000000006D64: D1CB0034 86307334
	v_fma_f32 v53, v53, s57, -v141                             // 000000006D6C: D1CB0035 86347335
	v_fma_f32 v54, v54, s57, -v142                             // 000000006D74: D1CB0036 86387336
	v_fma_f32 v55, v55, s57, -v143                             // 000000006D7C: D1CB0037 863C7337
	v_fma_f32 v56, v56, s57, -v140                             // 000000006D84: D1CB0038 86307338
	v_fma_f32 v57, v57, s57, -v141                             // 000000006D8C: D1CB0039 86347339
	v_mfma_f32_16x16x16_bf16 v[76:79], v[112:113], a[76:77], v[76:79]// 000000006D94: D3E1004C 15329970
	v_fma_f32 v58, v58, s57, -v142                             // 000000006D9C: D1CB003A 8638733A
	v_fma_f32 v59, v59, s57, -v143                             // 000000006DA4: D1CB003B 863C733B
	v_fma_f32 v60, v60, s57, -v140                             // 000000006DAC: D1CB003C 8630733C
	v_fma_f32 v61, v61, s57, -v141                             // 000000006DB4: D1CB003D 8634733D
	v_fma_f32 v62, v62, s57, -v142                             // 000000006DBC: D1CB003E 8638733E
	v_fma_f32 v63, v63, s57, -v143                             // 000000006DC4: D1CB003F 863C733F
	v_mfma_f32_16x16x16_bf16 v[76:79], v[114:115], a[78:79], v[76:79]// 000000006DCC: D3E1004C 15329D72
	v_fma_f32 v64, v64, s57, -v144                             // 000000006DD4: D1CB0040 86407340
	v_fma_f32 v65, v65, s57, -v145                             // 000000006DDC: D1CB0041 86447341
	v_fma_f32 v66, v66, s57, -v146                             // 000000006DE4: D1CB0042 86487342
	v_fma_f32 v67, v67, s57, -v147                             // 000000006DEC: D1CB0043 864C7343
	v_fma_f32 v68, v68, s57, -v144                             // 000000006DF4: D1CB0044 86407344
	v_fma_f32 v69, v69, s57, -v145                             // 000000006DFC: D1CB0045 86447345
	v_mfma_f32_16x16x16_bf16 v[80:83], v[108:109], a[80:81], 0 // 000000006E04: D3E10050 1202A16C
	ds_read_b128 a[104:107], v14 offset:6528                   // 000000006E0C: DBFE1980 6800000E
	ds_read_b128 a[108:111], v14 offset:7040                   // 000000006E14: DBFE1B80 6C00000E
	v_mfma_f32_16x16x16_bf16 v[80:83], v[110:111], a[82:83], v[80:83]// 000000006E1C: D3E10050 1542A56E
	v_fma_f32 v70, v70, s57, -v146                             // 000000006E24: D1CB0046 86487346
	v_fma_f32 v71, v71, s57, -v147                             // 000000006E2C: D1CB0047 864C7347
	v_fma_f32 v72, v72, s57, -v144                             // 000000006E34: D1CB0048 86407348
	v_fma_f32 v73, v73, s57, -v145                             // 000000006E3C: D1CB0049 86447349
	v_fma_f32 v74, v74, s57, -v146                             // 000000006E44: D1CB004A 8648734A
	v_fma_f32 v75, v75, s57, -v147                             // 000000006E4C: D1CB004B 864C734B
	v_mfma_f32_16x16x16_bf16 v[80:83], v[112:113], a[84:85], v[80:83]// 000000006E54: D3E10050 1542A970
	v_exp_f32_e32 v52, v52                                     // 000000006E5C: 7E684134
	v_exp_f32_e32 v53, v53                                     // 000000006E60: 7E6A4135
	v_mfma_f32_16x16x16_bf16 v[80:83], v[114:115], a[86:87], v[80:83]// 000000006E64: D3E10050 1542AD72
	v_exp_f32_e32 v54, v54                                     // 000000006E6C: 7E6C4136
	v_exp_f32_e32 v55, v55                                     // 000000006E70: 7E6E4137
	v_mfma_f32_16x16x16_bf16 v[84:87], v[108:109], a[88:89], 0 // 000000006E74: D3E10054 1202B16C
	ds_read_b64 v[156:157], v21 offset:31232                   // 000000006E7C: D8EC7A00 9C000015
	ds_read_b64 v[158:159], v21 offset:33280                   // 000000006E84: D8EC8200 9E000015
	v_mfma_f32_16x16x16_bf16 v[84:87], v[110:111], a[90:91], v[84:87]// 000000006E8C: D3E10054 1552B56E
	v_exp_f32_e32 v56, v56                                     // 000000006E94: 7E704138
	v_exp_f32_e32 v57, v57                                     // 000000006E98: 7E724139
	v_mfma_f32_16x16x16_bf16 v[84:87], v[112:113], a[92:93], v[84:87]// 000000006E9C: D3E10054 1552B970
	ds_read_b64 v[160:161], v21 offset:35328                   // 000000006EA4: D8EC8A00 A0000015
	ds_read_b64 v[162:163], v21 offset:37376                   // 000000006EAC: D8EC9200 A2000015
	v_mfma_f32_16x16x16_bf16 v[84:87], v[114:115], a[94:95], v[84:87]// 000000006EB4: D3E10054 1552BD72
	v_exp_f32_e32 v58, v58                                     // 000000006EBC: 7E74413A
	v_exp_f32_e32 v59, v59                                     // 000000006EC0: 7E76413B
	v_mfma_f32_16x16x16_bf16 v[88:91], v[116:117], a[72:73], 0 // 000000006EC4: D3E10058 12029174
	v_exp_f32_e32 v60, v60                                     // 000000006ECC: 7E78413C
	v_exp_f32_e32 v61, v61                                     // 000000006ED0: 7E7A413D
	v_mfma_f32_16x16x16_bf16 v[88:91], v[118:119], a[74:75], v[88:91]// 000000006ED4: D3E10058 15629576
	v_exp_f32_e32 v62, v62                                     // 000000006EDC: 7E7C413E
	v_exp_f32_e32 v63, v63                                     // 000000006EE0: 7E7E413F
	v_mfma_f32_16x16x16_bf16 v[88:91], v[120:121], a[76:77], v[88:91]// 000000006EE4: D3E10058 15629978
	v_exp_f32_e32 v64, v64                                     // 000000006EEC: 7E804140
	v_exp_f32_e32 v65, v65                                     // 000000006EF0: 7E824141
	v_mfma_f32_16x16x16_bf16 v[88:91], v[122:123], a[78:79], v[88:91]// 000000006EF4: D3E10058 15629D7A
	v_exp_f32_e32 v66, v66                                     // 000000006EFC: 7E844142
	v_exp_f32_e32 v67, v67                                     // 000000006F00: 7E864143
	v_mfma_f32_16x16x16_bf16 v[92:95], v[116:117], a[80:81], 0 // 000000006F04: D3E1005C 1202A174
	v_exp_f32_e32 v68, v68                                     // 000000006F0C: 7E884144
	v_exp_f32_e32 v69, v69                                     // 000000006F10: 7E8A4145
	v_mfma_f32_16x16x16_bf16 v[92:95], v[118:119], a[82:83], v[92:95]// 000000006F14: D3E1005C 1572A576
	v_exp_f32_e32 v70, v70                                     // 000000006F1C: 7E8C4146
	v_exp_f32_e32 v71, v71                                     // 000000006F20: 7E8E4147
	v_mfma_f32_16x16x16_bf16 v[92:95], v[120:121], a[84:85], v[92:95]// 000000006F24: D3E1005C 1572A978
	v_exp_f32_e32 v72, v72                                     // 000000006F2C: 7E904148
	v_exp_f32_e32 v73, v73                                     // 000000006F30: 7E924149
	v_mfma_f32_16x16x16_bf16 v[92:95], v[122:123], a[86:87], v[92:95]// 000000006F34: D3E1005C 1572AD7A
	v_exp_f32_e32 v74, v74                                     // 000000006F3C: 7E94414A
	v_exp_f32_e32 v75, v75                                     // 000000006F40: 7E96414B
	v_mfma_f32_16x16x16_bf16 v[96:99], v[116:117], a[88:89], 0 // 000000006F44: D3E10060 1202B174
	v_cmp_u_f32_e64 s[74:75], v52, v52                         // 000000006F4C: D048004A 00026934
	v_add3_u32 v226, v52, v229, 1                              // 000000006F54: D1FF00E2 0207CB34
	v_cndmask_b32_e64 v32, v226, v228, s[74:75]                // 000000006F5C: D1000020 012BC9E2
	v_cmp_u_f32_e64 s[74:75], v53, v53                         // 000000006F64: D048004A 00026B35
	v_add3_u32 v226, v53, v229, 1                              // 000000006F6C: D1FF00E2 0207CB35
	v_cndmask_b32_e64 v33, v226, v228, s[74:75]                // 000000006F74: D1000021 012BC9E2
	v_perm_b32 v164, v33, v32, s64                             // 000000006F7C: D1ED00A4 01024121
	v_cmp_u_f32_e64 s[74:75], v54, v54                         // 000000006F84: D048004A 00026D36
	v_add3_u32 v226, v54, v229, 1                              // 000000006F8C: D1FF00E2 0207CB36
	v_cndmask_b32_e64 v32, v226, v228, s[74:75]                // 000000006F94: D1000020 012BC9E2
	v_cmp_u_f32_e64 s[74:75], v55, v55                         // 000000006F9C: D048004A 00026F37
	v_add3_u32 v226, v55, v229, 1                              // 000000006FA4: D1FF00E2 0207CB37
	v_cndmask_b32_e64 v33, v226, v228, s[74:75]                // 000000006FAC: D1000021 012BC9E2
	v_perm_b32 v165, v33, v32, s64                             // 000000006FB4: D1ED00A5 01024121
	v_cmp_u_f32_e64 s[74:75], v56, v56                         // 000000006FBC: D048004A 00027138
	v_add3_u32 v226, v56, v229, 1                              // 000000006FC4: D1FF00E2 0207CB38
	v_cndmask_b32_e64 v32, v226, v228, s[74:75]                // 000000006FCC: D1000020 012BC9E2
	v_cmp_u_f32_e64 s[74:75], v57, v57                         // 000000006FD4: D048004A 00027339
	v_add3_u32 v226, v57, v229, 1                              // 000000006FDC: D1FF00E2 0207CB39
	v_cndmask_b32_e64 v33, v226, v228, s[74:75]                // 000000006FE4: D1000021 012BC9E2
	v_perm_b32 v166, v33, v32, s64                             // 000000006FEC: D1ED00A6 01024121
	v_cmp_u_f32_e64 s[74:75], v58, v58                         // 000000006FF4: D048004A 0002753A
	v_add3_u32 v226, v58, v229, 1                              // 000000006FFC: D1FF00E2 0207CB3A
	v_cndmask_b32_e64 v32, v226, v228, s[74:75]                // 000000007004: D1000020 012BC9E2
	v_cmp_u_f32_e64 s[74:75], v59, v59                         // 00000000700C: D048004A 0002773B
	v_add3_u32 v226, v59, v229, 1                              // 000000007014: D1FF00E2 0207CB3B
	v_cndmask_b32_e64 v33, v226, v228, s[74:75]                // 00000000701C: D1000021 012BC9E2
	v_perm_b32 v167, v33, v32, s64                             // 000000007024: D1ED00A7 01024121
	v_cmp_u_f32_e64 s[74:75], v60, v60                         // 00000000702C: D048004A 0002793C
	v_add3_u32 v226, v60, v229, 1                              // 000000007034: D1FF00E2 0207CB3C
	v_cndmask_b32_e64 v32, v226, v228, s[74:75]                // 00000000703C: D1000020 012BC9E2
	v_cmp_u_f32_e64 s[74:75], v61, v61                         // 000000007044: D048004A 00027B3D
	v_add3_u32 v226, v61, v229, 1                              // 00000000704C: D1FF00E2 0207CB3D
	v_cndmask_b32_e64 v33, v226, v228, s[74:75]                // 000000007054: D1000021 012BC9E2
	v_perm_b32 v168, v33, v32, s64                             // 00000000705C: D1ED00A8 01024121
	v_cmp_u_f32_e64 s[74:75], v62, v62                         // 000000007064: D048004A 00027D3E
	v_add3_u32 v226, v62, v229, 1                              // 00000000706C: D1FF00E2 0207CB3E
	v_cndmask_b32_e64 v32, v226, v228, s[74:75]                // 000000007074: D1000020 012BC9E2
	v_cmp_u_f32_e64 s[74:75], v63, v63                         // 00000000707C: D048004A 00027F3F
	v_add3_u32 v226, v63, v229, 1                              // 000000007084: D1FF00E2 0207CB3F
	v_cndmask_b32_e64 v33, v226, v228, s[74:75]                // 00000000708C: D1000021 012BC9E2
	v_perm_b32 v169, v33, v32, s64                             // 000000007094: D1ED00A9 01024121
	v_mfma_f32_16x16x16_bf16 v[96:99], v[118:119], a[90:91], v[96:99]// 00000000709C: D3E10060 1582B576
	v_cmp_u_f32_e64 s[74:75], v64, v64                         // 0000000070A4: D048004A 00028140
	v_add3_u32 v226, v64, v229, 1                              // 0000000070AC: D1FF00E2 0207CB40
	v_cndmask_b32_e64 v32, v226, v228, s[74:75]                // 0000000070B4: D1000020 012BC9E2
	v_cmp_u_f32_e64 s[74:75], v65, v65                         // 0000000070BC: D048004A 00028341
	v_add3_u32 v226, v65, v229, 1                              // 0000000070C4: D1FF00E2 0207CB41
	v_cndmask_b32_e64 v33, v226, v228, s[74:75]                // 0000000070CC: D1000021 012BC9E2
	v_perm_b32 v170, v33, v32, s64                             // 0000000070D4: D1ED00AA 01024121
	v_cmp_u_f32_e64 s[74:75], v66, v66                         // 0000000070DC: D048004A 00028542
	v_add3_u32 v226, v66, v229, 1                              // 0000000070E4: D1FF00E2 0207CB42
	v_cndmask_b32_e64 v32, v226, v228, s[74:75]                // 0000000070EC: D1000020 012BC9E2
	v_cmp_u_f32_e64 s[74:75], v67, v67                         // 0000000070F4: D048004A 00028743
	v_add3_u32 v226, v67, v229, 1                              // 0000000070FC: D1FF00E2 0207CB43
	v_cndmask_b32_e64 v33, v226, v228, s[74:75]                // 000000007104: D1000021 012BC9E2
	v_perm_b32 v171, v33, v32, s64                             // 00000000710C: D1ED00AB 01024121
	v_cmp_u_f32_e64 s[74:75], v68, v68                         // 000000007114: D048004A 00028944
	v_add3_u32 v226, v68, v229, 1                              // 00000000711C: D1FF00E2 0207CB44
	v_cndmask_b32_e64 v32, v226, v228, s[74:75]                // 000000007124: D1000020 012BC9E2
	v_cmp_u_f32_e64 s[74:75], v69, v69                         // 00000000712C: D048004A 00028B45
	v_add3_u32 v226, v69, v229, 1                              // 000000007134: D1FF00E2 0207CB45
	v_cndmask_b32_e64 v33, v226, v228, s[74:75]                // 00000000713C: D1000021 012BC9E2
	v_perm_b32 v172, v33, v32, s64                             // 000000007144: D1ED00AC 01024121
	v_cmp_u_f32_e64 s[74:75], v70, v70                         // 00000000714C: D048004A 00028D46
	v_add3_u32 v226, v70, v229, 1                              // 000000007154: D1FF00E2 0207CB46
	v_cndmask_b32_e64 v32, v226, v228, s[74:75]                // 00000000715C: D1000020 012BC9E2
	v_cmp_u_f32_e64 s[74:75], v71, v71                         // 000000007164: D048004A 00028F47
	v_add3_u32 v226, v71, v229, 1                              // 00000000716C: D1FF00E2 0207CB47
	v_cndmask_b32_e64 v33, v226, v228, s[74:75]                // 000000007174: D1000021 012BC9E2
	v_perm_b32 v173, v33, v32, s64                             // 00000000717C: D1ED00AD 01024121
	v_cmp_u_f32_e64 s[74:75], v72, v72                         // 000000007184: D048004A 00029148
	v_add3_u32 v226, v72, v229, 1                              // 00000000718C: D1FF00E2 0207CB48
	v_cndmask_b32_e64 v32, v226, v228, s[74:75]                // 000000007194: D1000020 012BC9E2
	v_cmp_u_f32_e64 s[74:75], v73, v73                         // 00000000719C: D048004A 00029349
	v_add3_u32 v226, v73, v229, 1                              // 0000000071A4: D1FF00E2 0207CB49
	v_cndmask_b32_e64 v33, v226, v228, s[74:75]                // 0000000071AC: D1000021 012BC9E2
	v_perm_b32 v174, v33, v32, s64                             // 0000000071B4: D1ED00AE 01024121
	v_cmp_u_f32_e64 s[74:75], v74, v74                         // 0000000071BC: D048004A 0002954A
	v_add3_u32 v226, v74, v229, 1                              // 0000000071C4: D1FF00E2 0207CB4A
	v_cndmask_b32_e64 v32, v226, v228, s[74:75]                // 0000000071CC: D1000020 012BC9E2
	v_cmp_u_f32_e64 s[74:75], v75, v75                         // 0000000071D4: D048004A 0002974B
	v_add3_u32 v226, v75, v229, 1                              // 0000000071DC: D1FF00E2 0207CB4B
	v_cndmask_b32_e64 v33, v226, v228, s[74:75]                // 0000000071E4: D1000021 012BC9E2
	v_perm_b32 v175, v33, v32, s64                             // 0000000071EC: D1ED00AF 01024121
	v_mfma_f32_16x16x16_bf16 v[96:99], v[120:121], a[92:93], v[96:99]// 0000000071F4: D3E10060 1582B978
	v_add_u32_e32 v6, s66, v6                                  // 0000000071FC: 680C0C42
	v_add_u32_e32 v7, s66, v7                                  // 000000007200: 680E0E42
	v_add_u32_e32 v8, s66, v8                                  // 000000007204: 68101042
	v_add_u32_e32 v9, s66, v9                                  // 000000007208: 68121242
	v_mfma_f32_16x16x16_bf16 v[96:99], v[122:123], a[94:95], v[96:99]// 00000000720C: D3E10060 1582BD7A
	s_waitcnt lgkmcnt(0)                                       // 000000007214: BF8CC07F
	s_barrier                                                  // 000000007218: BF8A0000
	v_mfma_f32_16x16x16_bf16 v[178:181], v[124:125], v[164:165], v[178:181]// 00000000721C: D3E100B2 06CB497C
	v_subrev_f32_dpp v76, v176, v76 quad_perm:[0,0,0,0] row_mask:0xf bank_mask:0xf// 000000007224: 069898FA FF0000B0
	v_subrev_f32_dpp v77, v176, v77 quad_perm:[1,1,1,1] row_mask:0xf bank_mask:0xf// 00000000722C: 069A9AFA FF0055B0
	v_subrev_f32_dpp v78, v176, v78 quad_perm:[2,2,2,2] row_mask:0xf bank_mask:0xf// 000000007234: 069C9CFA FF00AAB0
	v_subrev_f32_dpp v79, v176, v79 quad_perm:[3,3,3,3] row_mask:0xf bank_mask:0xf// 00000000723C: 069E9EFA FF00FFB0
	v_subrev_f32_dpp v80, v176, v80 quad_perm:[0,0,0,0] row_mask:0xf bank_mask:0xf// 000000007244: 06A0A0FA FF0000B0
	v_subrev_f32_dpp v81, v176, v81 quad_perm:[1,1,1,1] row_mask:0xf bank_mask:0xf// 00000000724C: 06A2A2FA FF0055B0
	v_mfma_f32_16x16x16_bf16 v[182:185], v[126:127], v[164:165], v[182:185]// 000000007254: D3E100B6 06DB497E
	v_subrev_f32_dpp v82, v176, v82 quad_perm:[2,2,2,2] row_mask:0xf bank_mask:0xf// 00000000725C: 06A4A4FA FF00AAB0
	v_subrev_f32_dpp v83, v176, v83 quad_perm:[3,3,3,3] row_mask:0xf bank_mask:0xf// 000000007264: 06A6A6FA FF00FFB0
	v_subrev_f32_dpp v84, v176, v84 quad_perm:[0,0,0,0] row_mask:0xf bank_mask:0xf// 00000000726C: 06A8A8FA FF0000B0
	v_subrev_f32_dpp v85, v176, v85 quad_perm:[1,1,1,1] row_mask:0xf bank_mask:0xf// 000000007274: 06AAAAFA FF0055B0
	v_subrev_f32_dpp v86, v176, v86 quad_perm:[2,2,2,2] row_mask:0xf bank_mask:0xf// 00000000727C: 06ACACFA FF00AAB0
	v_subrev_f32_dpp v87, v176, v87 quad_perm:[3,3,3,3] row_mask:0xf bank_mask:0xf// 000000007284: 06AEAEFA FF00FFB0
	v_mfma_f32_16x16x16_bf16 v[186:189], v[128:129], v[164:165], v[186:189]// 00000000728C: D3E100BA 06EB4980
	v_mul_f32_e32 v76, v52, v76                                // 000000007294: 0A989934
	v_mul_f32_e32 v77, v53, v77                                // 000000007298: 0A9A9B35
	v_mul_f32_e32 v78, v54, v78                                // 00000000729C: 0A9C9D36
	v_mul_f32_e32 v79, v55, v79                                // 0000000072A0: 0A9E9F37
	v_mul_f32_e32 v80, v56, v80                                // 0000000072A4: 0AA0A138
	v_mul_f32_e32 v81, v57, v81                                // 0000000072A8: 0AA2A339
	v_mfma_f32_16x16x16_bf16 v[190:193], v[130:131], v[164:165], v[190:193]// 0000000072AC: D3E100BE 06FB4982
	v_mul_f32_e32 v82, v58, v82                                // 0000000072B4: 0AA4A53A
	v_mul_f32_e32 v83, v59, v83                                // 0000000072B8: 0AA6A73B
	v_mul_f32_e32 v84, v60, v84                                // 0000000072BC: 0AA8A93C
	v_mul_f32_e32 v85, v61, v85                                // 0000000072C0: 0AAAAB3D
	v_mul_f32_e32 v86, v62, v86                                // 0000000072C4: 0AACAD3E
	v_mul_f32_e32 v87, v63, v87                                // 0000000072C8: 0AAEAF3F
	v_mfma_f32_16x16x16_bf16 v[194:197], v[124:125], v[166:167], v[194:197]// 0000000072CC: D3E100C2 070B4D7C
	v_cmp_u_f32_e64 s[74:75], v76, v76                         // 0000000072D4: D048004A 0002994C
	v_add3_u32 v226, v76, v229, 1                              // 0000000072DC: D1FF00E2 0207CB4C
	v_cndmask_b32_e64 v32, v226, v228, s[74:75]                // 0000000072E4: D1000020 012BC9E2
	v_cmp_u_f32_e64 s[74:75], v77, v77                         // 0000000072EC: D048004A 00029B4D
	v_add3_u32 v226, v77, v229, 1                              // 0000000072F4: D1FF00E2 0207CB4D
	v_cndmask_b32_e64 v33, v226, v228, s[74:75]                // 0000000072FC: D1000021 012BC9E2
	v_perm_b32 v76, v33, v32, s64                              // 000000007304: D1ED004C 01024121
	v_cmp_u_f32_e64 s[74:75], v78, v78                         // 00000000730C: D048004A 00029D4E
	v_add3_u32 v226, v78, v229, 1                              // 000000007314: D1FF00E2 0207CB4E
	v_cndmask_b32_e64 v32, v226, v228, s[74:75]                // 00000000731C: D1000020 012BC9E2
	v_cmp_u_f32_e64 s[74:75], v79, v79                         // 000000007324: D048004A 00029F4F
	v_add3_u32 v226, v79, v229, 1                              // 00000000732C: D1FF00E2 0207CB4F
	v_cndmask_b32_e64 v33, v226, v228, s[74:75]                // 000000007334: D1000021 012BC9E2
	v_perm_b32 v77, v33, v32, s64                              // 00000000733C: D1ED004D 01024121
	v_cmp_u_f32_e64 s[74:75], v80, v80                         // 000000007344: D048004A 0002A150
	v_add3_u32 v226, v80, v229, 1                              // 00000000734C: D1FF00E2 0207CB50
	v_cndmask_b32_e64 v32, v226, v228, s[74:75]                // 000000007354: D1000020 012BC9E2
	v_cmp_u_f32_e64 s[74:75], v81, v81                         // 00000000735C: D048004A 0002A351
	v_add3_u32 v226, v81, v229, 1                              // 000000007364: D1FF00E2 0207CB51
	v_cndmask_b32_e64 v33, v226, v228, s[74:75]                // 00000000736C: D1000021 012BC9E2
	v_perm_b32 v78, v33, v32, s64                              // 000000007374: D1ED004E 01024121
	v_cmp_u_f32_e64 s[74:75], v82, v82                         // 00000000737C: D048004A 0002A552
	v_add3_u32 v226, v82, v229, 1                              // 000000007384: D1FF00E2 0207CB52
	v_cndmask_b32_e64 v32, v226, v228, s[74:75]                // 00000000738C: D1000020 012BC9E2
	v_cmp_u_f32_e64 s[74:75], v83, v83                         // 000000007394: D048004A 0002A753
	v_add3_u32 v226, v83, v229, 1                              // 00000000739C: D1FF00E2 0207CB53
	v_cndmask_b32_e64 v33, v226, v228, s[74:75]                // 0000000073A4: D1000021 012BC9E2
	v_perm_b32 v79, v33, v32, s64                              // 0000000073AC: D1ED004F 01024121
	v_cmp_u_f32_e64 s[74:75], v84, v84                         // 0000000073B4: D048004A 0002A954
	v_add3_u32 v226, v84, v229, 1                              // 0000000073BC: D1FF00E2 0207CB54
	v_cndmask_b32_e64 v32, v226, v228, s[74:75]                // 0000000073C4: D1000020 012BC9E2
	v_cmp_u_f32_e64 s[74:75], v85, v85                         // 0000000073CC: D048004A 0002AB55
	v_add3_u32 v226, v85, v229, 1                              // 0000000073D4: D1FF00E2 0207CB55
	v_cndmask_b32_e64 v33, v226, v228, s[74:75]                // 0000000073DC: D1000021 012BC9E2
	v_perm_b32 v80, v33, v32, s64                              // 0000000073E4: D1ED0050 01024121
	v_cmp_u_f32_e64 s[74:75], v86, v86                         // 0000000073EC: D048004A 0002AD56
	v_add3_u32 v226, v86, v229, 1                              // 0000000073F4: D1FF00E2 0207CB56
	v_cndmask_b32_e64 v32, v226, v228, s[74:75]                // 0000000073FC: D1000020 012BC9E2
	v_cmp_u_f32_e64 s[74:75], v87, v87                         // 000000007404: D048004A 0002AF57
	v_add3_u32 v226, v87, v229, 1                              // 00000000740C: D1FF00E2 0207CB57
	v_cndmask_b32_e64 v33, v226, v228, s[74:75]                // 000000007414: D1000021 012BC9E2
	v_perm_b32 v81, v33, v32, s64                              // 00000000741C: D1ED0051 01024121
	v_mfma_f32_16x16x16_bf16 v[198:201], v[126:127], v[166:167], v[198:201]// 000000007424: D3E100C6 071B4D7E
	v_mov_b32_dpp v18, v76 quad_perm:[1,0,3,2] row_mask:0xf bank_mask:0xf// 00000000742C: 7E2402FA FF00B14C
	v_perm_b32 v52, v18, v76, v17                              // 000000007434: D1ED0034 04469912
	v_mov_b32_dpp v18, v77 quad_perm:[1,0,3,2] row_mask:0xf bank_mask:0xf// 00000000743C: 7E2402FA FF00B14D
	v_perm_b32 v53, v18, v77, v17                              // 000000007444: D1ED0035 04469B12
	v_mov_b32_dpp v18, v78 quad_perm:[1,0,3,2] row_mask:0xf bank_mask:0xf// 00000000744C: 7E2402FA FF00B14E
	v_perm_b32 v54, v18, v78, v17                              // 000000007454: D1ED0036 04469D12
	v_mfma_f32_16x16x16_bf16 v[202:205], v[128:129], v[166:167], v[202:205]// 00000000745C: D3E100CA 072B4D80
	v_mov_b32_dpp v18, v79 quad_perm:[1,0,3,2] row_mask:0xf bank_mask:0xf// 000000007464: 7E2402FA FF00B14F
	v_perm_b32 v55, v18, v79, v17                              // 00000000746C: D1ED0037 04469F12
	v_mov_b32_dpp v18, v80 quad_perm:[1,0,3,2] row_mask:0xf bank_mask:0xf// 000000007474: 7E2402FA FF00B150
	v_perm_b32 v56, v18, v80, v17                              // 00000000747C: D1ED0038 0446A112
	v_mov_b32_dpp v18, v81 quad_perm:[1,0,3,2] row_mask:0xf bank_mask:0xf// 000000007484: 7E2402FA FF00B151
	v_perm_b32 v57, v18, v81, v17                              // 00000000748C: D1ED0039 0446A312
	v_mfma_f32_16x16x16_bf16 v[206:209], v[130:131], v[166:167], v[206:209]// 000000007494: D3E100CE 073B4D82
	ds_write_b32 v20, v52 offset:17408                         // 00000000749C: D81A4400 00003414
	ds_write_b32 v20, v53 offset:17952                         // 0000000074A4: D81A4620 00003514
	v_mfma_f32_16x16x16_bf16 v[210:213], v[124:125], v[168:169], v[210:213]// 0000000074AC: D3E100D2 074B517C
	v_subrev_f32_dpp v88, v177, v88 quad_perm:[0,0,0,0] row_mask:0xf bank_mask:0xf// 0000000074B4: 06B0B0FA FF0000B1
	v_subrev_f32_dpp v89, v177, v89 quad_perm:[1,1,1,1] row_mask:0xf bank_mask:0xf// 0000000074BC: 06B2B2FA FF0055B1
	v_subrev_f32_dpp v90, v177, v90 quad_perm:[2,2,2,2] row_mask:0xf bank_mask:0xf// 0000000074C4: 06B4B4FA FF00AAB1
	v_subrev_f32_dpp v91, v177, v91 quad_perm:[3,3,3,3] row_mask:0xf bank_mask:0xf// 0000000074CC: 06B6B6FA FF00FFB1
	v_subrev_f32_dpp v92, v177, v92 quad_perm:[0,0,0,0] row_mask:0xf bank_mask:0xf// 0000000074D4: 06B8B8FA FF0000B1
	v_subrev_f32_dpp v93, v177, v93 quad_perm:[1,1,1,1] row_mask:0xf bank_mask:0xf// 0000000074DC: 06BABAFA FF0055B1
	v_mfma_f32_16x16x16_bf16 v[214:217], v[126:127], v[168:169], v[214:217]// 0000000074E4: D3E100D6 075B517E
	ds_write_b32 v20, v54 offset:19712                         // 0000000074EC: D81A4D00 00003614
	ds_write_b32 v20, v55 offset:20256                         // 0000000074F4: D81A4F20 00003714
	v_mfma_f32_16x16x16_bf16 v[218:221], v[128:129], v[168:169], v[218:221]// 0000000074FC: D3E100DA 076B5180
	v_subrev_f32_dpp v94, v177, v94 quad_perm:[2,2,2,2] row_mask:0xf bank_mask:0xf// 000000007504: 06BCBCFA FF00AAB1
	v_subrev_f32_dpp v95, v177, v95 quad_perm:[3,3,3,3] row_mask:0xf bank_mask:0xf// 00000000750C: 06BEBEFA FF00FFB1
	v_subrev_f32_dpp v96, v177, v96 quad_perm:[0,0,0,0] row_mask:0xf bank_mask:0xf// 000000007514: 06C0C0FA FF0000B1
	v_subrev_f32_dpp v97, v177, v97 quad_perm:[1,1,1,1] row_mask:0xf bank_mask:0xf// 00000000751C: 06C2C2FA FF0055B1
	v_subrev_f32_dpp v98, v177, v98 quad_perm:[2,2,2,2] row_mask:0xf bank_mask:0xf// 000000007524: 06C4C4FA FF00AAB1
	v_subrev_f32_dpp v99, v177, v99 quad_perm:[3,3,3,3] row_mask:0xf bank_mask:0xf// 00000000752C: 06C6C6FA FF00FFB1
	v_mfma_f32_16x16x16_bf16 v[222:225], v[130:131], v[168:169], v[222:225]// 000000007534: D3E100DE 077B5182
	ds_write_b32 v20, v56 offset:22016                         // 00000000753C: D81A5600 00003814
	ds_write_b32 v20, v57 offset:22560                         // 000000007544: D81A5820 00003914
	v_mfma_f32_16x16x16_bf16 v[178:181], v[132:133], v[170:171], v[178:181]// 00000000754C: D3E100B2 06CB5584
	v_mul_f32_e32 v88, v64, v88                                // 000000007554: 0AB0B140
	v_mul_f32_e32 v89, v65, v89                                // 000000007558: 0AB2B341
	v_mul_f32_e32 v90, v66, v90                                // 00000000755C: 0AB4B542
	v_mul_f32_e32 v91, v67, v91                                // 000000007560: 0AB6B743
	v_mul_f32_e32 v92, v68, v92                                // 000000007564: 0AB8B944
	v_mul_f32_e32 v93, v69, v93                                // 000000007568: 0ABABB45
	v_mfma_f32_16x16x16_bf16 v[182:185], v[134:135], v[170:171], v[182:185]// 00000000756C: D3E100B6 06DB5586
	v_mul_f32_e32 v94, v70, v94                                // 000000007574: 0ABCBD46
	v_mul_f32_e32 v95, v71, v95                                // 000000007578: 0ABEBF47
	v_mul_f32_e32 v96, v72, v96                                // 00000000757C: 0AC0C148
	v_mul_f32_e32 v97, v73, v97                                // 000000007580: 0AC2C349
	v_mul_f32_e32 v98, v74, v98                                // 000000007584: 0AC4C54A
	v_mul_f32_e32 v99, v75, v99                                // 000000007588: 0AC6C74B
	v_mfma_f32_16x16x16_bf16 v[186:189], v[136:137], v[170:171], v[186:189]// 00000000758C: D3E100BA 06EB5588
	v_cmp_u_f32_e64 s[74:75], v88, v88                         // 000000007594: D048004A 0002B158
	v_add3_u32 v226, v88, v229, 1                              // 00000000759C: D1FF00E2 0207CB58
	v_cndmask_b32_e64 v32, v226, v228, s[74:75]                // 0000000075A4: D1000020 012BC9E2
	v_cmp_u_f32_e64 s[74:75], v89, v89                         // 0000000075AC: D048004A 0002B359
	v_add3_u32 v226, v89, v229, 1                              // 0000000075B4: D1FF00E2 0207CB59
	v_cndmask_b32_e64 v33, v226, v228, s[74:75]                // 0000000075BC: D1000021 012BC9E2
	v_perm_b32 v82, v33, v32, s64                              // 0000000075C4: D1ED0052 01024121
	v_cmp_u_f32_e64 s[74:75], v90, v90                         // 0000000075CC: D048004A 0002B55A
	v_add3_u32 v226, v90, v229, 1                              // 0000000075D4: D1FF00E2 0207CB5A
	v_cndmask_b32_e64 v32, v226, v228, s[74:75]                // 0000000075DC: D1000020 012BC9E2
	v_cmp_u_f32_e64 s[74:75], v91, v91                         // 0000000075E4: D048004A 0002B75B
	v_add3_u32 v226, v91, v229, 1                              // 0000000075EC: D1FF00E2 0207CB5B
	v_cndmask_b32_e64 v33, v226, v228, s[74:75]                // 0000000075F4: D1000021 012BC9E2
	v_perm_b32 v83, v33, v32, s64                              // 0000000075FC: D1ED0053 01024121
	v_cmp_u_f32_e64 s[74:75], v92, v92                         // 000000007604: D048004A 0002B95C
	v_add3_u32 v226, v92, v229, 1                              // 00000000760C: D1FF00E2 0207CB5C
	v_cndmask_b32_e64 v32, v226, v228, s[74:75]                // 000000007614: D1000020 012BC9E2
	v_cmp_u_f32_e64 s[74:75], v93, v93                         // 00000000761C: D048004A 0002BB5D
	v_add3_u32 v226, v93, v229, 1                              // 000000007624: D1FF00E2 0207CB5D
	v_cndmask_b32_e64 v33, v226, v228, s[74:75]                // 00000000762C: D1000021 012BC9E2
	v_perm_b32 v84, v33, v32, s64                              // 000000007634: D1ED0054 01024121
	v_cmp_u_f32_e64 s[74:75], v94, v94                         // 00000000763C: D048004A 0002BD5E
	v_add3_u32 v226, v94, v229, 1                              // 000000007644: D1FF00E2 0207CB5E
	v_cndmask_b32_e64 v32, v226, v228, s[74:75]                // 00000000764C: D1000020 012BC9E2
	v_cmp_u_f32_e64 s[74:75], v95, v95                         // 000000007654: D048004A 0002BF5F
	v_add3_u32 v226, v95, v229, 1                              // 00000000765C: D1FF00E2 0207CB5F
	v_cndmask_b32_e64 v33, v226, v228, s[74:75]                // 000000007664: D1000021 012BC9E2
	v_perm_b32 v85, v33, v32, s64                              // 00000000766C: D1ED0055 01024121
	v_cmp_u_f32_e64 s[74:75], v96, v96                         // 000000007674: D048004A 0002C160
	v_add3_u32 v226, v96, v229, 1                              // 00000000767C: D1FF00E2 0207CB60
	v_cndmask_b32_e64 v32, v226, v228, s[74:75]                // 000000007684: D1000020 012BC9E2
	v_cmp_u_f32_e64 s[74:75], v97, v97                         // 00000000768C: D048004A 0002C361
	v_add3_u32 v226, v97, v229, 1                              // 000000007694: D1FF00E2 0207CB61
	v_cndmask_b32_e64 v33, v226, v228, s[74:75]                // 00000000769C: D1000021 012BC9E2
	v_perm_b32 v86, v33, v32, s64                              // 0000000076A4: D1ED0056 01024121
	v_cmp_u_f32_e64 s[74:75], v98, v98                         // 0000000076AC: D048004A 0002C562
	v_add3_u32 v226, v98, v229, 1                              // 0000000076B4: D1FF00E2 0207CB62
	v_cndmask_b32_e64 v32, v226, v228, s[74:75]                // 0000000076BC: D1000020 012BC9E2
	v_cmp_u_f32_e64 s[74:75], v99, v99                         // 0000000076C4: D048004A 0002C763
	v_add3_u32 v226, v99, v229, 1                              // 0000000076CC: D1FF00E2 0207CB63
	v_cndmask_b32_e64 v33, v226, v228, s[74:75]                // 0000000076D4: D1000021 012BC9E2
	v_perm_b32 v87, v33, v32, s64                              // 0000000076DC: D1ED0057 01024121
	v_mfma_f32_16x16x16_bf16 v[190:193], v[138:139], v[170:171], v[190:193]// 0000000076E4: D3E100BE 06FB558A
	v_mov_b32_dpp v18, v82 quad_perm:[1,0,3,2] row_mask:0xf bank_mask:0xf// 0000000076EC: 7E2402FA FF00B152
	v_perm_b32 v58, v18, v82, v17                              // 0000000076F4: D1ED003A 0446A512
	v_mov_b32_dpp v18, v83 quad_perm:[1,0,3,2] row_mask:0xf bank_mask:0xf// 0000000076FC: 7E2402FA FF00B153
	v_perm_b32 v59, v18, v83, v17                              // 000000007704: D1ED003B 0446A712
	v_mov_b32_dpp v18, v84 quad_perm:[1,0,3,2] row_mask:0xf bank_mask:0xf// 00000000770C: 7E2402FA FF00B154
	v_perm_b32 v60, v18, v84, v17                              // 000000007714: D1ED003C 0446A912
	v_mfma_f32_16x16x16_bf16 v[194:197], v[132:133], v[172:173], v[194:197]// 00000000771C: D3E100C2 070B5984
	v_mov_b32_dpp v18, v85 quad_perm:[1,0,3,2] row_mask:0xf bank_mask:0xf// 000000007724: 7E2402FA FF00B155
	v_perm_b32 v61, v18, v85, v17                              // 00000000772C: D1ED003D 0446AB12
	v_mov_b32_dpp v18, v86 quad_perm:[1,0,3,2] row_mask:0xf bank_mask:0xf// 000000007734: 7E2402FA FF00B156
	v_perm_b32 v62, v18, v86, v17                              // 00000000773C: D1ED003E 0446AD12
	v_mov_b32_dpp v18, v87 quad_perm:[1,0,3,2] row_mask:0xf bank_mask:0xf// 000000007744: 7E2402FA FF00B157
	v_perm_b32 v63, v18, v87, v17                              // 00000000774C: D1ED003F 0446AF12
	v_mfma_f32_16x16x16_bf16 v[198:201], v[134:135], v[172:173], v[198:201]// 000000007754: D3E100C6 071B5986
	ds_write_b32 v20, v58 offset:24320                         // 00000000775C: D81A5F00 00003A14
	ds_write_b32 v20, v59 offset:24864                         // 000000007764: D81A6120 00003B14
	v_mfma_f32_16x16x16_bf16 v[202:205], v[136:137], v[172:173], v[202:205]// 00000000776C: D3E100CA 072B5988
	v_mfma_f32_16x16x16_bf16 v[206:209], v[138:139], v[172:173], v[206:209]// 000000007774: D3E100CE 073B598A
	ds_write_b32 v20, v60 offset:26624                         // 00000000777C: D81A6800 00003C14
	ds_write_b32 v20, v61 offset:27168                         // 000000007784: D81A6A20 00003D14
	ds_write_b32 v20, v62 offset:28928                         // 00000000778C: D81A7100 00003E14
	ds_write_b32 v20, v63 offset:29472                         // 000000007794: D81A7320 00003F14
	v_mfma_f32_16x16x16_bf16 v[210:213], v[132:133], v[174:175], v[210:213]// 00000000779C: D3E100D2 074B5D84
	v_mfma_f32_16x16x16_bf16 v[214:217], v[134:135], v[174:175], v[214:217]// 0000000077A4: D3E100D6 075B5D86
	ds_write_b32 v15, v100 offset:4352                         // 0000000077AC: D81A1100 0000640F
	ds_write_b32 v15, v101 offset:5408                         // 0000000077B4: D81A1520 0000650F
	v_mfma_f32_16x16x16_bf16 v[218:221], v[136:137], v[174:175], v[218:221]// 0000000077BC: D3E100DA 076B5D88
	s_nop 0                                                    // 0000000077C4: BF800000
	s_nop 0                                                    // 0000000077C8: BF800000
	s_nop 0                                                    // 0000000077CC: BF800000
	v_mfma_f32_16x16x16_bf16 v[222:225], v[138:139], v[174:175], v[222:225]// 0000000077D0: D3E100DE 077B5D8A
	ds_write_b32 v15, v102 offset:6528                         // 0000000077D8: D81A1980 0000660F
	ds_write_b32 v15, v103 offset:7584                         // 0000000077E0: D81A1DA0 0000670F
	s_barrier                                                  // 0000000077E8: BF8A0000
	v_mfma_f32_16x16x16_bf16 a[112:115], a[96:97], v[76:77], a[112:115]// 0000000077EC: D3E18070 0DC29960
	buffer_atomic_add_f32 v156, v6, s[32:35], 0 idxen          // 0000000077F4: E1342000 80089C06
	v_mfma_f32_16x16x16_bf16 a[116:119], a[98:99], v[76:77], a[116:119]// 0000000077FC: D3E18074 0DD29962
	ds_read_b32 v140, v23 offset:39424                         // 000000007804: D86C9A00 8C000017
	ds_read_b32 v144, v23 offset:39488                         // 00000000780C: D86C9A40 90000017
	ds_read_b32 v176, v23 offset:39680                         // 000000007814: D86C9B00 B0000017
	ds_read_b32 v177, v23 offset:39744                         // 00000000781C: D86C9B40 B1000017
	v_mfma_f32_16x16x16_bf16 a[120:123], a[100:101], v[76:77], a[120:123]// 000000007824: D3E18078 0DE29964
	s_waitcnt lgkmcnt(8)                                       // 00000000782C: BF8CC87F
	s_barrier                                                  // 000000007830: BF8A0000
	v_mfma_f32_16x16x16_bf16 a[124:127], a[102:103], v[76:77], a[124:127]// 000000007834: D3E1807C 0DF29966
	ds_read_b128 v[52:55], v19 offset:17408                    // 00000000783C: D9FE4400 34000013
	v_mfma_f32_16x16x16_bf16 a[128:131], a[96:97], v[78:79], a[128:131]// 000000007844: D3E18080 0E029D60
	v_mfma_f32_16x16x16_bf16 a[132:135], a[98:99], v[78:79], a[132:135]// 00000000784C: D3E18084 0E129D62
	ds_read_b128 v[56:59], v19 offset:18560                    // 000000007854: D9FE4880 38000013
	v_mfma_f32_16x16x16_bf16 a[136:139], a[100:101], v[78:79], a[136:139]// 00000000785C: D3E18088 0E229D64
	buffer_atomic_add_f32 v157, v7, s[32:35], 0 idxen          // 000000007864: E1342000 80089D07
	v_mfma_f32_16x16x16_bf16 a[140:143], a[102:103], v[78:79], a[140:143]// 00000000786C: D3E1808C 0E329D66
	ds_read_b128 v[60:63], v19 offset:19712                    // 000000007874: D9FE4D00 3C000013
	v_mfma_f32_16x16x16_bf16 a[144:147], a[96:97], v[80:81], a[144:147]// 00000000787C: D3E18090 0E42A160
	v_mfma_f32_16x16x16_bf16 a[148:151], a[98:99], v[80:81], a[148:151]// 000000007884: D3E18094 0E52A162
	ds_read_b128 v[64:67], v19 offset:20864                    // 00000000788C: D9FE5180 40000013
	v_mfma_f32_16x16x16_bf16 a[152:155], a[100:101], v[80:81], a[152:155]// 000000007894: D3E18098 0E62A164
	v_mfma_f32_16x16x16_bf16 a[156:159], a[102:103], v[80:81], a[156:159]// 00000000789C: D3E1809C 0E72A166
	ds_read_b128 v[68:71], v19 offset:22016                    // 0000000078A4: D9FE5600 44000013
	v_mfma_f32_16x16x16_bf16 a[112:115], a[104:105], v[82:83], a[112:115]// 0000000078AC: D3E18070 0DC2A568
	buffer_atomic_add_f32 v158, v6, s[32:35], 0 idxen offset:128// 0000000078B4: E1342080 80089E06
	v_mfma_f32_16x16x16_bf16 a[116:119], a[106:107], v[82:83], a[116:119]// 0000000078BC: D3E18074 0DD2A56A
	ds_read_b128 v[72:75], v19 offset:23168                    // 0000000078C4: D9FE5A80 48000013
	v_mfma_f32_16x16x16_bf16 a[120:123], a[108:109], v[82:83], a[120:123]// 0000000078CC: D3E18078 0DE2A56C
	v_mfma_f32_16x16x16_bf16 a[124:127], a[110:111], v[82:83], a[124:127]// 0000000078D4: D3E1807C 0DF2A56E
	ds_write_b32 v15, v104 offset:13056                        // 0000000078DC: D81A3300 0000680F
	v_mfma_f32_16x16x16_bf16 a[128:131], a[104:105], v[84:85], a[128:131]// 0000000078E4: D3E18080 0E02A968
	v_mfma_f32_16x16x16_bf16 a[132:135], a[106:107], v[84:85], a[132:135]// 0000000078EC: D3E18084 0E12A96A
	ds_write_b32 v15, v105 offset:14112                        // 0000000078F4: D81A3720 0000690F
	v_mfma_f32_16x16x16_bf16 a[136:139], a[108:109], v[84:85], a[136:139]// 0000000078FC: D3E18088 0E22A96C
	buffer_atomic_add_f32 v159, v7, s[32:35], 0 idxen offset:128// 000000007904: E1342080 80089F07
	v_mfma_f32_16x16x16_bf16 a[140:143], a[110:111], v[84:85], a[140:143]// 00000000790C: D3E1808C 0E32A96E
	ds_write_b32 v15, v106 offset:15232                        // 000000007914: D81A3B80 00006A0F
	v_mfma_f32_16x16x16_bf16 a[144:147], a[104:105], v[86:87], a[144:147]// 00000000791C: D3E18090 0E42AD68
	v_mfma_f32_16x16x16_bf16 a[148:151], a[106:107], v[86:87], a[148:151]// 000000007924: D3E18094 0E52AD6A
	ds_write_b32 v15, v107 offset:16288                        // 00000000792C: D81A3FA0 00006B0F
	v_mfma_f32_16x16x16_bf16 a[152:155], a[108:109], v[86:87], a[152:155]// 000000007934: D3E18098 0E62AD6C
	v_mfma_f32_16x16x16_bf16 a[156:159], a[110:111], v[86:87], a[156:159]// 00000000793C: D3E1809C 0E72AD6E
	s_waitcnt vmcnt(8) lgkmcnt(4)                              // 000000007944: BF8C0478
	s_barrier                                                  // 000000007948: BF8A0000
	v_mfma_f32_16x16x16_bf16 v[148:151], v[52:53], a[24:25], 0 // 00000000794C: D3E10094 12023134
	v_mul_f32_e32 v140, s48, v140                              // 000000007954: 0B191830
	v_mul_f32_e32 v144, s48, v144                              // 000000007958: 0B212030
	s_nop 0                                                    // 00000000795C: BF800000
	v_mfma_f32_16x16x16_bf16 v[148:151], v[54:55], a[28:29], v[148:151]// 000000007960: D3E10094 16523936
	ds_read_b128 a[96:99], v12                                 // 000000007968: DBFE0000 6000000C
	buffer_load_dword v36, v1, s[8:11], 0 idxen                // 000000007970: E0502000 80022401
	v_mfma_f32_16x16x16_bf16 v[148:151], v[56:57], a[32:33], v[148:151]// 000000007978: D3E10094 16524138
	v_mfma_f32_16x16x16_bf16 v[148:151], v[58:59], a[36:37], v[148:151]// 000000007980: D3E10094 1652493A
	ds_read_b128 a[100:103], v12 offset:512                    // 000000007988: DBFE0200 6400000C
	buffer_load_dword v37, v2, s[8:11], 0 idxen                // 000000007990: E0502000 80022502
	v_mfma_f32_16x16x16_bf16 v[148:151], v[60:61], a[40:41], v[148:151]// 000000007998: D3E10094 1652513C
	v_perm_b32 v100, v41, v40, s63                             // 0000000079A0: D1ED0064 00FE5129
	v_perm_b32 v101, v41, v40, s64                             // 0000000079A8: D1ED0065 01025129
	v_mfma_f32_16x16x16_bf16 v[148:151], v[62:63], a[44:45], v[148:151]// 0000000079B0: D3E10094 1652593E
	ds_read_b128 a[104:107], v12 offset:2176                   // 0000000079B8: DBFE0880 6800000C
	buffer_load_dword v38, v3, s[8:11], 0 idxen                // 0000000079C0: E0502000 80022603
	v_mfma_f32_16x16x16_bf16 v[148:151], v[64:65], a[48:49], v[148:151]// 0000000079C8: D3E10094 16526140
	v_perm_b32 v102, v43, v42, s63                             // 0000000079D0: D1ED0066 00FE552B
	v_perm_b32 v103, v43, v42, s64                             // 0000000079D8: D1ED0067 0102552B
	v_mfma_f32_16x16x16_bf16 v[148:151], v[66:67], a[52:53], v[148:151]// 0000000079E0: D3E10094 16526942
	ds_read_b128 a[108:111], v12 offset:2688                   // 0000000079E8: DBFE0A80 6C00000C
	buffer_load_dword v39, v4, s[8:11], 0 idxen                // 0000000079F0: E0502000 80022704
	v_mfma_f32_16x16x16_bf16 v[148:151], v[68:69], a[56:57], v[148:151]// 0000000079F8: D3E10094 16527144
	v_perm_b32 v104, v49, v48, s63                             // 000000007A00: D1ED0068 00FE6131
	v_perm_b32 v105, v49, v48, s64                             // 000000007A08: D1ED0069 01026131
	v_mfma_f32_16x16x16_bf16 v[148:151], v[70:71], a[60:61], v[148:151]// 000000007A10: D3E10094 16527946
	ds_read_b128 v[108:111], v12 offset:8704                   // 000000007A18: D9FE2200 6C00000C
	buffer_load_dword v44, v231, s[20:23], 0 idxen             // 000000007A20: E0502000 80052CE7
	v_mfma_f32_16x16x16_bf16 v[148:151], v[72:73], a[64:65], v[148:151]// 000000007A28: D3E10094 16528148
	v_perm_b32 v106, v51, v50, s63                             // 000000007A30: D1ED006A 00FE6533
	v_perm_b32 v107, v51, v50, s64                             // 000000007A38: D1ED006B 01026533
	v_mfma_f32_16x16x16_bf16 v[148:151], v[74:75], a[68:69], v[148:151]// 000000007A40: D3E10094 1652894A
	ds_read_b128 v[112:115], v12 offset:9216                   // 000000007A48: D9FE2400 7000000C
	buffer_load_dword v45, v232, s[20:23], 0 idxen             // 000000007A50: E0502000 80052DE8
	v_mfma_f32_16x16x16_bf16 v[152:155], v[52:53], a[26:27], 0 // 000000007A58: D3E10098 12023534
	v_mov_b32_dpp v143, v140 quad_perm:[3,3,3,3] row_mask:0xf bank_mask:0xf// 000000007A60: 7F1E02FA FF00FF8C
	v_mov_b32_dpp v142, v140 quad_perm:[2,2,2,2] row_mask:0xf bank_mask:0xf// 000000007A68: 7F1C02FA FF00AA8C
	v_mov_b32_dpp v141, v140 quad_perm:[1,1,1,1] row_mask:0xf bank_mask:0xf// 000000007A70: 7F1A02FA FF00558C
	v_mov_b32_dpp v140, v140 quad_perm:[0,0,0,0] row_mask:0xf bank_mask:0xf// 000000007A78: 7F1802FA FF00008C
	v_mfma_f32_16x16x16_bf16 v[152:155], v[54:55], a[30:31], v[152:155]// 000000007A80: D3E10098 16623D36
	ds_read_b128 v[116:119], v12 offset:10880                  // 000000007A88: D9FE2A80 7400000C
	buffer_load_dword v46, v233, s[20:23], 0 idxen             // 000000007A90: E0502000 80052EE9
	v_mfma_f32_16x16x16_bf16 v[152:155], v[56:57], a[34:35], v[152:155]// 000000007A98: D3E10098 16624538
	v_mov_b32_dpp v147, v144 quad_perm:[3,3,3,3] row_mask:0xf bank_mask:0xf// 000000007AA0: 7F2602FA FF00FF90
	v_mov_b32_dpp v146, v144 quad_perm:[2,2,2,2] row_mask:0xf bank_mask:0xf// 000000007AA8: 7F2402FA FF00AA90
	v_mov_b32_dpp v145, v144 quad_perm:[1,1,1,1] row_mask:0xf bank_mask:0xf// 000000007AB0: 7F2202FA FF005590
	v_mov_b32_dpp v144, v144 quad_perm:[0,0,0,0] row_mask:0xf bank_mask:0xf// 000000007AB8: 7F2002FA FF000090
	s_add_u32 s60, 0x80, s59                                   // 000000007AC0: 803C3BFF 00000080
	v_mfma_f32_16x16x16_bf16 v[152:155], v[58:59], a[38:39], v[152:155]// 000000007AC8: D3E10098 16624D3A
	ds_read_b128 v[120:123], v12 offset:11392                  // 000000007AD0: D9FE2C80 7800000C
	buffer_load_dword v47, v234, s[20:23], 0 idxen             // 000000007AD8: E0502000 80052FEA
	v_mfma_f32_16x16x16_bf16 v[152:155], v[60:61], a[42:43], v[152:155]// 000000007AE0: D3E10098 1662553C
	s_cmp_lt_u32 s60, s58                                      // 000000007AE8: BF0A3A3C
	s_cselect_b32 s68, s68, 0                                  // 000000007AEC: 85448044
	s_cselect_b32 s95, s95, 0                                  // 000000007AF0: 855F805F
	s_cselect_b32 s69, s69, 0                                  // 000000007AF4: 85458045
	v_mfma_f32_16x16x16_bf16 v[152:155], v[62:63], a[46:47], v[152:155]// 000000007AF8: D3E10098 16625D3E
	buffer_load_dword v11, s[24:27], 0 idxen lds               // 000000007B00: E0512000 8006000B
	v_mfma_f32_16x16x16_bf16 v[152:155], v[64:65], a[50:51], v[152:155]// 000000007B08: D3E10098 16626540
	v_add_u32_e32 v1, s68, v1                                  // 000000007B10: 68020244
	v_add_u32_e32 v2, s68, v2                                  // 000000007B14: 68040444
	v_add_u32_e32 v3, s68, v3                                  // 000000007B18: 68060644
	v_add_u32_e32 v4, s68, v4                                  // 000000007B1C: 68080844
	v_mfma_f32_16x16x16_bf16 v[152:155], v[66:67], a[54:55], v[152:155]// 000000007B20: D3E10098 16626D42
	v_add_u32_e32 v231, s95, v231                              // 000000007B28: 69CFCE5F
	v_add_u32_e32 v232, s95, v232                              // 000000007B2C: 69D1D05F
	v_add_u32_e32 v233, s95, v233                              // 000000007B30: 69D3D25F
	v_add_u32_e32 v234, s95, v234                              // 000000007B34: 69D5D45F
	v_mfma_f32_16x16x16_bf16 v[152:155], v[68:69], a[58:59], v[152:155]// 000000007B38: D3E10098 16627544
	s_mov_b32 m0, s77                                          // 000000007B40: BEFC004D
	v_add_u32_e32 v11, s69, v11                                // 000000007B44: 68161645
	v_mfma_f32_16x16x16_bf16 v[152:155], v[70:71], a[62:63], v[152:155]// 000000007B48: D3E10098 16627D46
	s_cmp_ge_u32 s59, 32                                       // 000000007B50: BF09A03B
	s_cselect_b32 s66, s67, s66                                // 000000007B54: 85424243
	v_mfma_f32_16x16x16_bf16 v[152:155], v[72:73], a[66:67], v[152:155]// 000000007B58: D3E10098 16628548
	s_addk_i32 s59, 0x20                                       // 000000007B60: B73B0020
	s_nop 0                                                    // 000000007B64: BF800000
	s_cmp_lt_i32 s59, s58                                      // 000000007B68: BF043A3B
	v_mfma_f32_16x16x16_bf16 v[152:155], v[74:75], a[70:71], v[152:155]// 000000007B6C: D3E10098 16628D4A
	s_cbranch_scc0 label_0EF1                                  // 000000007B74: BF840001
	s_branch label_061C                                        // 000000007B78: BF82F73D

0000000000007b7c <label_0EF1>:
	s_nop 0                                                    // 000000007B7C: BF800000
	s_nop 0                                                    // 000000007B80: BF800000
	s_branch label_17C9                                        // 000000007B84: BF8208C3

0000000000007b88 <label_0EF4>:
	s_waitcnt lgkmcnt(0)                                       // 000000007B88: BF8CC07F
	s_barrier                                                  // 000000007B8C: BF8A0000
	v_mfma_f32_16x16x16_bf16 v[52:55], a[96:97], a[0:1], 0     // 000000007B90: D3E10034 1A020160
	v_mul_f32_e32 v148, s47, v148                              // 000000007B98: 0B29282F
	v_mul_f32_e32 v149, s47, v149                              // 000000007B9C: 0B2B2A2F
	v_mfma_f32_16x16x16_bf16 v[52:55], a[98:99], a[2:3], v[52:55]// 000000007BA0: D3E10034 1CD20562
	ds_write_b32 v13, v48 offset:8704                          // 000000007BA8: D81A2200 0000300D
	ds_write_b32 v13, v49 offset:9760                          // 000000007BB0: D81A2620 0000310D
	v_mfma_f32_16x16x16_bf16 v[52:55], a[100:101], a[4:5], v[52:55]// 000000007BB8: D3E10034 1CD20964
	v_mul_f32_e32 v150, s47, v150                              // 000000007BC0: 0B2D2C2F
	v_mul_f32_e32 v151, s47, v151                              // 000000007BC4: 0B2F2E2F
	v_mfma_f32_16x16x16_bf16 v[52:55], a[102:103], a[6:7], v[52:55]// 000000007BC8: D3E10034 1CD20D66
	ds_write_b32 v13, v50 offset:10880                         // 000000007BD0: D81A2A80 0000320D
	ds_write_b32 v13, v51 offset:11936                         // 000000007BD8: D81A2EA0 0000330D
	v_mfma_f32_16x16x16_bf16 v[56:59], a[96:97], a[8:9], 0     // 000000007BE0: D3E10038 1A021160
	v_mul_f32_e32 v152, s47, v152                              // 000000007BE8: 0B31302F
	v_mul_f32_e32 v153, s47, v153                              // 000000007BEC: 0B33322F
	v_mfma_f32_16x16x16_bf16 v[56:59], a[98:99], a[10:11], v[56:59]// 000000007BF0: D3E10038 1CE21562
	ds_write_b64 v22, v[148:149] offset:31232                  // 000000007BF8: D89A7A00 00009416
	v_mfma_f32_16x16x16_bf16 v[56:59], a[100:101], a[12:13], v[56:59]// 000000007C00: D3E10038 1CE21964
	v_mul_f32_e32 v154, s47, v154                              // 000000007C08: 0B35342F
	v_mul_f32_e32 v155, s47, v155                              // 000000007C0C: 0B37362F
	v_mfma_f32_16x16x16_bf16 v[56:59], a[102:103], a[14:15], v[56:59]// 000000007C10: D3E10038 1CE21D66
	ds_write_b64 v22, v[150:151] offset:31744                  // 000000007C18: D89A7C00 00009616
	v_mfma_f32_16x16x16_bf16 v[60:63], a[96:97], a[16:17], 0   // 000000007C20: D3E1003C 1A022160
	buffer_atomic_add_f32 v160, v8, s[32:35], 0 idxen          // 000000007C28: E1342000 8008A008
	v_mfma_f32_16x16x16_bf16 v[60:63], a[98:99], a[18:19], v[60:63]// 000000007C30: D3E1003C 1CF22562
	ds_write_b64 v22, v[152:153] offset:32256                  // 000000007C38: D89A7E00 00009816
	v_mfma_f32_16x16x16_bf16 v[60:63], a[100:101], a[20:21], v[60:63]// 000000007C40: D3E1003C 1CF22964
	v_mfma_f32_16x16x16_bf16 v[60:63], a[102:103], a[22:23], v[60:63]// 000000007C48: D3E1003C 1CF22D66
	ds_write_b64 v22, v[154:155] offset:32768                  // 000000007C50: D89A8000 00009A16
	v_mfma_f32_16x16x16_bf16 v[64:67], a[104:105], a[0:1], 0   // 000000007C58: D3E10040 1A020168
	buffer_atomic_add_f32 v161, v9, s[32:35], 0 idxen          // 000000007C60: E1342000 8008A109
	v_mfma_f32_16x16x16_bf16 v[64:67], a[106:107], a[2:3], v[64:67]// 000000007C68: D3E10040 1D02056A
	ds_read_b128 v[124:127], v14 offset:13056                  // 000000007C70: D9FE3300 7C00000E
	ds_write_b32 v13, v40                                      // 000000007C78: D81A0000 0000280D
	v_mfma_f32_16x16x16_bf16 v[64:67], a[108:109], a[4:5], v[64:67]// 000000007C80: D3E10040 1D02096C
	v_mfma_f32_16x16x16_bf16 v[64:67], a[110:111], a[6:7], v[64:67]// 000000007C88: D3E10040 1D020D6E
	v_mfma_f32_16x16x16_bf16 v[68:71], a[104:105], a[8:9], 0   // 000000007C90: D3E10044 1A021168
	ds_read_b128 v[128:131], v14 offset:13568                  // 000000007C98: D9FE3500 8000000E
	ds_write_b32 v13, v41 offset:1056                          // 000000007CA0: D81A0420 0000290D
	v_mfma_f32_16x16x16_bf16 v[68:71], a[106:107], a[10:11], v[68:71]// 000000007CA8: D3E10044 1D12156A
	buffer_atomic_add_f32 v162, v8, s[32:35], 0 idxen offset:128// 000000007CB0: E1342080 8008A208
	v_mfma_f32_16x16x16_bf16 v[68:71], a[108:109], a[12:13], v[68:71]// 000000007CB8: D3E10044 1D12196C
	v_mfma_f32_16x16x16_bf16 v[68:71], a[110:111], a[14:15], v[68:71]// 000000007CC0: D3E10044 1D121D6E
	ds_read_b128 v[132:135], v14 offset:15232                  // 000000007CC8: D9FE3B80 8400000E
	ds_write_b32 v13, v42 offset:2176                          // 000000007CD0: D81A0880 00002A0D
	v_mfma_f32_16x16x16_bf16 v[72:75], a[104:105], a[16:17], 0 // 000000007CD8: D3E10048 1A022168
	v_mfma_f32_16x16x16_bf16 v[72:75], a[106:107], a[18:19], v[72:75]// 000000007CE0: D3E10048 1D22256A
	buffer_atomic_add_f32 v163, v9, s[32:35], 0 idxen offset:128// 000000007CE8: E1342080 8008A309
	v_mfma_f32_16x16x16_bf16 v[72:75], a[108:109], a[20:21], v[72:75]// 000000007CF0: D3E10048 1D22296C
	ds_read_b128 v[136:139], v14 offset:15744                  // 000000007CF8: D9FE3D80 8800000E
	ds_write_b32 v13, v43 offset:3232                          // 000000007D00: D81A0CA0 00002B0D
	v_mfma_f32_16x16x16_bf16 v[72:75], a[110:111], a[22:23], v[72:75]// 000000007D08: D3E10048 1D222D6E
	s_cmp_lt_i32 s97, 0xc0                                     // 000000007D10: BF04FF61 000000C0
	s_cbranch_scc0 label_0FCF                                  // 000000007D18: BF84006D
	s_cmp_le_i32 s97, 64                                       // 000000007D1C: BF05C061
	s_cbranch_scc1 label_0F62                                  // 000000007D20: BF850007
	s_cmp_le_i32 s97, 0x80                                     // 000000007D24: BF05FF61 00000080
	s_cbranch_scc1 label_0F86                                  // 000000007D2C: BF85001F
	s_cmp_lt_i32 s97, 0xc0                                     // 000000007D30: BF04FF61 000000C0
	s_cbranch_scc1 label_0FAA                                  // 000000007D38: BF850040
	s_branch label_0FCF                                        // 000000007D3C: BF820064

0000000000007d40 <label_0F62>:
	s_mov_b32 s60, 0                                           // 000000007D40: BEBC0080
	v_and_b32_e32 v32, 15, v0                                  // 000000007D44: 2640008F
	v_add_u32_e64 v32, v32, s60                                // 000000007D48: D1340020 00007920
	v_mul_i32_i24_e64 v33, s46, 16                             // 000000007D50: D1060021 0001202E
	v_add_u32_e32 v32, v32, v33                                // 000000007D58: 68404320
	v_cmp_lt_u32_e64 s[60:61], v32, s97                        // 000000007D5C: D0C9003C 0000C320
	s_nop 1                                                    // 000000007D64: BF800001
	v_cndmask_b32_e64 v52, v230, v52, s[60:61]                 // 000000007D68: D1000034 00F269E6
	v_cndmask_b32_e64 v64, v230, v64, s[60:61]                 // 000000007D70: D1000040 00F281E6
	v_cndmask_b32_e64 v53, v230, v53, s[60:61]                 // 000000007D78: D1000035 00F26BE6
	v_cndmask_b32_e64 v65, v230, v65, s[60:61]                 // 000000007D80: D1000041 00F283E6
	v_cndmask_b32_e64 v54, v230, v54, s[60:61]                 // 000000007D88: D1000036 00F26DE6
	v_cndmask_b32_e64 v66, v230, v66, s[60:61]                 // 000000007D90: D1000042 00F285E6
	v_cndmask_b32_e64 v55, v230, v55, s[60:61]                 // 000000007D98: D1000037 00F26FE6
	v_cndmask_b32_e64 v67, v230, v67, s[60:61]                 // 000000007DA0: D1000043 00F287E6
	s_branch label_0FA1                                        // 000000007DA8: BF82001B

0000000000007dac <label_0F86>:
	s_mov_b32 s60, 64                                          // 000000007DAC: BEBC00C0
	v_and_b32_e32 v32, 15, v0                                  // 000000007DB0: 2640008F
	v_add_u32_e64 v32, v32, s60                                // 000000007DB4: D1340020 00007920
	v_mul_i32_i24_e64 v33, s46, 16                             // 000000007DBC: D1060021 0001202E
	v_add_u32_e32 v32, v32, v33                                // 000000007DC4: 68404320
	v_cmp_lt_u32_e64 s[60:61], v32, s97                        // 000000007DC8: D0C9003C 0000C320
	s_nop 1                                                    // 000000007DD0: BF800001
	v_cndmask_b32_e64 v56, v230, v56, s[60:61]                 // 000000007DD4: D1000038 00F271E6
	v_cndmask_b32_e64 v68, v230, v68, s[60:61]                 // 000000007DDC: D1000044 00F289E6
	v_cndmask_b32_e64 v57, v230, v57, s[60:61]                 // 000000007DE4: D1000039 00F273E6
	v_cndmask_b32_e64 v69, v230, v69, s[60:61]                 // 000000007DEC: D1000045 00F28BE6
	v_cndmask_b32_e64 v58, v230, v58, s[60:61]                 // 000000007DF4: D100003A 00F275E6
	v_cndmask_b32_e64 v70, v230, v70, s[60:61]                 // 000000007DFC: D1000046 00F28DE6
	v_cndmask_b32_e64 v59, v230, v59, s[60:61]                 // 000000007E04: D100003B 00F277E6
	v_cndmask_b32_e64 v71, v230, v71, s[60:61]                 // 000000007E0C: D1000047 00F28FE6
	s_branch label_0FC6                                        // 000000007E14: BF820025

0000000000007e18 <label_0FA1>:
	v_mov_b32_e32 v56, v230                                    // 000000007E18: 7E7003E6
	v_mov_b32_e32 v68, v230                                    // 000000007E1C: 7E8803E6
	v_mov_b32_e32 v57, v230                                    // 000000007E20: 7E7203E6
	v_mov_b32_e32 v69, v230                                    // 000000007E24: 7E8A03E6
	v_mov_b32_e32 v58, v230                                    // 000000007E28: 7E7403E6
	v_mov_b32_e32 v70, v230                                    // 000000007E2C: 7E8C03E6
	v_mov_b32_e32 v59, v230                                    // 000000007E30: 7E7603E6
	v_mov_b32_e32 v71, v230                                    // 000000007E34: 7E8E03E6
	s_branch label_0FC6                                        // 000000007E38: BF82001C

0000000000007e3c <label_0FAA>:
	s_mov_b32 s60, 0x80                                        // 000000007E3C: BEBC00FF 00000080
	v_and_b32_e32 v32, 15, v0                                  // 000000007E44: 2640008F
	v_add_u32_e64 v32, v32, s60                                // 000000007E48: D1340020 00007920
	v_mul_i32_i24_e64 v33, s46, 16                             // 000000007E50: D1060021 0001202E
	v_add_u32_e32 v32, v32, v33                                // 000000007E58: 68404320
	v_cmp_lt_u32_e64 s[60:61], v32, s97                        // 000000007E5C: D0C9003C 0000C320
	s_nop 1                                                    // 000000007E64: BF800001
	v_cndmask_b32_e64 v60, v230, v60, s[60:61]                 // 000000007E68: D100003C 00F279E6
	v_cndmask_b32_e64 v72, v230, v72, s[60:61]                 // 000000007E70: D1000048 00F291E6
	v_cndmask_b32_e64 v61, v230, v61, s[60:61]                 // 000000007E78: D100003D 00F27BE6
	v_cndmask_b32_e64 v73, v230, v73, s[60:61]                 // 000000007E80: D1000049 00F293E6
	v_cndmask_b32_e64 v62, v230, v62, s[60:61]                 // 000000007E88: D100003E 00F27DE6
	v_cndmask_b32_e64 v74, v230, v74, s[60:61]                 // 000000007E90: D100004A 00F295E6
	v_cndmask_b32_e64 v63, v230, v63, s[60:61]                 // 000000007E98: D100003F 00F27FE6
	v_cndmask_b32_e64 v75, v230, v75, s[60:61]                 // 000000007EA0: D100004B 00F297E6
	s_branch label_0FCF                                        // 000000007EA8: BF820009

0000000000007eac <label_0FC6>:
	v_mov_b32_e32 v60, v230                                    // 000000007EAC: 7E7803E6
	v_mov_b32_e32 v72, v230                                    // 000000007EB0: 7E9003E6
	v_mov_b32_e32 v61, v230                                    // 000000007EB4: 7E7A03E6
	v_mov_b32_e32 v73, v230                                    // 000000007EB8: 7E9203E6
	v_mov_b32_e32 v62, v230                                    // 000000007EBC: 7E7C03E6
	v_mov_b32_e32 v74, v230                                    // 000000007EC0: 7E9403E6
	v_mov_b32_e32 v63, v230                                    // 000000007EC4: 7E7E03E6
	v_mov_b32_e32 v75, v230                                    // 000000007EC8: 7E9603E6
	s_branch label_0FCF                                        // 000000007ECC: BF820000

0000000000007ed0 <label_0FCF>:
	s_waitcnt lgkmcnt(8)                                       // 000000007ED0: BF8CC87F
	s_barrier                                                  // 000000007ED4: BF8A0000
	v_mfma_f32_16x16x16_bf16 v[76:79], v[108:109], a[72:73], 0 // 000000007ED8: D3E1004C 1202916C
	v_fma_f32 v52, v52, s57, -v140                             // 000000007EE0: D1CB0034 86307334
	v_fma_f32 v53, v53, s57, -v141                             // 000000007EE8: D1CB0035 86347335
	v_fma_f32 v54, v54, s57, -v142                             // 000000007EF0: D1CB0036 86387336
	v_fma_f32 v55, v55, s57, -v143                             // 000000007EF8: D1CB0037 863C7337
	v_fma_f32 v56, v56, s57, -v140                             // 000000007F00: D1CB0038 86307338
	v_fma_f32 v57, v57, s57, -v141                             // 000000007F08: D1CB0039 86347339
	v_mfma_f32_16x16x16_bf16 v[76:79], v[110:111], a[74:75], v[76:79]// 000000007F10: D3E1004C 1532956E
	ds_read_b128 a[96:99], v14 offset:4352                     // 000000007F18: DBFE1100 6000000E
	ds_read_b128 a[100:103], v14 offset:4864                   // 000000007F20: DBFE1300 6400000E
	v_mfma_f32_16x16x16_bf16 v[76:79], v[112:113], a[76:77], v[76:79]// 000000007F28: D3E1004C 15329970
	v_fma_f32 v58, v58, s57, -v142                             // 000000007F30: D1CB003A 8638733A
	v_fma_f32 v59, v59, s57, -v143                             // 000000007F38: D1CB003B 863C733B
	v_fma_f32 v60, v60, s57, -v140                             // 000000007F40: D1CB003C 8630733C
	v_fma_f32 v61, v61, s57, -v141                             // 000000007F48: D1CB003D 8634733D
	v_fma_f32 v62, v62, s57, -v142                             // 000000007F50: D1CB003E 8638733E
	v_fma_f32 v63, v63, s57, -v143                             // 000000007F58: D1CB003F 863C733F
	v_mfma_f32_16x16x16_bf16 v[76:79], v[114:115], a[78:79], v[76:79]// 000000007F60: D3E1004C 15329D72
	v_fma_f32 v64, v64, s57, -v144                             // 000000007F68: D1CB0040 86407340
	v_fma_f32 v65, v65, s57, -v145                             // 000000007F70: D1CB0041 86447341
	v_fma_f32 v66, v66, s57, -v146                             // 000000007F78: D1CB0042 86487342
	v_fma_f32 v67, v67, s57, -v147                             // 000000007F80: D1CB0043 864C7343
	v_fma_f32 v68, v68, s57, -v144                             // 000000007F88: D1CB0044 86407344
	v_fma_f32 v69, v69, s57, -v145                             // 000000007F90: D1CB0045 86447345
	v_mfma_f32_16x16x16_bf16 v[80:83], v[108:109], a[80:81], 0 // 000000007F98: D3E10050 1202A16C
	v_fma_f32 v70, v70, s57, -v146                             // 000000007FA0: D1CB0046 86487346
	v_fma_f32 v71, v71, s57, -v147                             // 000000007FA8: D1CB0047 864C7347
	v_fma_f32 v72, v72, s57, -v144                             // 000000007FB0: D1CB0048 86407348
	v_fma_f32 v73, v73, s57, -v145                             // 000000007FB8: D1CB0049 86447349
	v_fma_f32 v74, v74, s57, -v146                             // 000000007FC0: D1CB004A 8648734A
	v_fma_f32 v75, v75, s57, -v147                             // 000000007FC8: D1CB004B 864C734B
	v_mfma_f32_16x16x16_bf16 v[80:83], v[110:111], a[82:83], v[80:83]// 000000007FD0: D3E10050 1542A56E
	ds_read_b128 a[104:107], v14 offset:6528                   // 000000007FD8: DBFE1980 6800000E
	ds_read_b128 a[108:111], v14 offset:7040                   // 000000007FE0: DBFE1B80 6C00000E
	v_mfma_f32_16x16x16_bf16 v[80:83], v[112:113], a[84:85], v[80:83]// 000000007FE8: D3E10050 1542A970
	v_exp_f32_e32 v52, v52                                     // 000000007FF0: 7E684134
	v_exp_f32_e32 v53, v53                                     // 000000007FF4: 7E6A4135
	v_mfma_f32_16x16x16_bf16 v[80:83], v[114:115], a[86:87], v[80:83]// 000000007FF8: D3E10050 1542AD72
	v_exp_f32_e32 v54, v54                                     // 000000008000: 7E6C4136
	v_exp_f32_e32 v55, v55                                     // 000000008004: 7E6E4137
	v_mfma_f32_16x16x16_bf16 v[84:87], v[108:109], a[88:89], 0 // 000000008008: D3E10054 1202B16C
	v_exp_f32_e32 v56, v56                                     // 000000008010: 7E704138
	v_exp_f32_e32 v57, v57                                     // 000000008014: 7E724139
	v_mfma_f32_16x16x16_bf16 v[84:87], v[110:111], a[90:91], v[84:87]// 000000008018: D3E10054 1552B56E
	ds_read_b64 v[156:157], v21 offset:31232                   // 000000008020: D8EC7A00 9C000015
	ds_read_b64 v[158:159], v21 offset:33280                   // 000000008028: D8EC8200 9E000015
	v_mfma_f32_16x16x16_bf16 v[84:87], v[112:113], a[92:93], v[84:87]// 000000008030: D3E10054 1552B970
	v_exp_f32_e32 v58, v58                                     // 000000008038: 7E74413A
	v_exp_f32_e32 v59, v59                                     // 00000000803C: 7E76413B
	v_mfma_f32_16x16x16_bf16 v[84:87], v[114:115], a[94:95], v[84:87]// 000000008040: D3E10054 1552BD72
	ds_read_b64 v[160:161], v21 offset:35328                   // 000000008048: D8EC8A00 A0000015
	ds_read_b64 v[162:163], v21 offset:37376                   // 000000008050: D8EC9200 A2000015
	v_mfma_f32_16x16x16_bf16 v[88:91], v[116:117], a[72:73], 0 // 000000008058: D3E10058 12029174
	v_exp_f32_e32 v60, v60                                     // 000000008060: 7E78413C
	v_exp_f32_e32 v61, v61                                     // 000000008064: 7E7A413D
	v_mfma_f32_16x16x16_bf16 v[88:91], v[118:119], a[74:75], v[88:91]// 000000008068: D3E10058 15629576
	v_exp_f32_e32 v62, v62                                     // 000000008070: 7E7C413E
	v_exp_f32_e32 v63, v63                                     // 000000008074: 7E7E413F
	v_mfma_f32_16x16x16_bf16 v[88:91], v[120:121], a[76:77], v[88:91]// 000000008078: D3E10058 15629978
	v_exp_f32_e32 v64, v64                                     // 000000008080: 7E804140
	v_exp_f32_e32 v65, v65                                     // 000000008084: 7E824141
	v_mfma_f32_16x16x16_bf16 v[88:91], v[122:123], a[78:79], v[88:91]// 000000008088: D3E10058 15629D7A
	v_exp_f32_e32 v66, v66                                     // 000000008090: 7E844142
	v_exp_f32_e32 v67, v67                                     // 000000008094: 7E864143
	v_mfma_f32_16x16x16_bf16 v[92:95], v[116:117], a[80:81], 0 // 000000008098: D3E1005C 1202A174
	v_exp_f32_e32 v68, v68                                     // 0000000080A0: 7E884144
	v_exp_f32_e32 v69, v69                                     // 0000000080A4: 7E8A4145
	v_mfma_f32_16x16x16_bf16 v[92:95], v[118:119], a[82:83], v[92:95]// 0000000080A8: D3E1005C 1572A576
	v_exp_f32_e32 v70, v70                                     // 0000000080B0: 7E8C4146
	v_exp_f32_e32 v71, v71                                     // 0000000080B4: 7E8E4147
	v_mfma_f32_16x16x16_bf16 v[92:95], v[120:121], a[84:85], v[92:95]// 0000000080B8: D3E1005C 1572A978
	v_exp_f32_e32 v72, v72                                     // 0000000080C0: 7E904148
	v_exp_f32_e32 v73, v73                                     // 0000000080C4: 7E924149
	v_mfma_f32_16x16x16_bf16 v[92:95], v[122:123], a[86:87], v[92:95]// 0000000080C8: D3E1005C 1572AD7A
	v_exp_f32_e32 v74, v74                                     // 0000000080D0: 7E94414A
	v_exp_f32_e32 v75, v75                                     // 0000000080D4: 7E96414B
	v_mfma_f32_16x16x16_bf16 v[96:99], v[116:117], a[88:89], 0 // 0000000080D8: D3E10060 1202B174
	v_cmp_u_f32_e64 s[74:75], v52, v52                         // 0000000080E0: D048004A 00026934
	v_add3_u32 v226, v52, v229, 1                              // 0000000080E8: D1FF00E2 0207CB34
	v_cndmask_b32_e64 v32, v226, v228, s[74:75]                // 0000000080F0: D1000020 012BC9E2
	v_cmp_u_f32_e64 s[74:75], v53, v53                         // 0000000080F8: D048004A 00026B35
	v_add3_u32 v226, v53, v229, 1                              // 000000008100: D1FF00E2 0207CB35
	v_cndmask_b32_e64 v33, v226, v228, s[74:75]                // 000000008108: D1000021 012BC9E2
	v_perm_b32 v164, v33, v32, s64                             // 000000008110: D1ED00A4 01024121
	v_cmp_u_f32_e64 s[74:75], v54, v54                         // 000000008118: D048004A 00026D36
	v_add3_u32 v226, v54, v229, 1                              // 000000008120: D1FF00E2 0207CB36
	v_cndmask_b32_e64 v32, v226, v228, s[74:75]                // 000000008128: D1000020 012BC9E2
	v_cmp_u_f32_e64 s[74:75], v55, v55                         // 000000008130: D048004A 00026F37
	v_add3_u32 v226, v55, v229, 1                              // 000000008138: D1FF00E2 0207CB37
	v_cndmask_b32_e64 v33, v226, v228, s[74:75]                // 000000008140: D1000021 012BC9E2
	v_perm_b32 v165, v33, v32, s64                             // 000000008148: D1ED00A5 01024121
	v_cmp_u_f32_e64 s[74:75], v56, v56                         // 000000008150: D048004A 00027138
	v_add3_u32 v226, v56, v229, 1                              // 000000008158: D1FF00E2 0207CB38
	v_cndmask_b32_e64 v32, v226, v228, s[74:75]                // 000000008160: D1000020 012BC9E2
	v_cmp_u_f32_e64 s[74:75], v57, v57                         // 000000008168: D048004A 00027339
	v_add3_u32 v226, v57, v229, 1                              // 000000008170: D1FF00E2 0207CB39
	v_cndmask_b32_e64 v33, v226, v228, s[74:75]                // 000000008178: D1000021 012BC9E2
	v_perm_b32 v166, v33, v32, s64                             // 000000008180: D1ED00A6 01024121
	v_cmp_u_f32_e64 s[74:75], v58, v58                         // 000000008188: D048004A 0002753A
	v_add3_u32 v226, v58, v229, 1                              // 000000008190: D1FF00E2 0207CB3A
	v_cndmask_b32_e64 v32, v226, v228, s[74:75]                // 000000008198: D1000020 012BC9E2
	v_cmp_u_f32_e64 s[74:75], v59, v59                         // 0000000081A0: D048004A 0002773B
	v_add3_u32 v226, v59, v229, 1                              // 0000000081A8: D1FF00E2 0207CB3B
	v_cndmask_b32_e64 v33, v226, v228, s[74:75]                // 0000000081B0: D1000021 012BC9E2
	v_perm_b32 v167, v33, v32, s64                             // 0000000081B8: D1ED00A7 01024121
	v_cmp_u_f32_e64 s[74:75], v60, v60                         // 0000000081C0: D048004A 0002793C
	v_add3_u32 v226, v60, v229, 1                              // 0000000081C8: D1FF00E2 0207CB3C
	v_cndmask_b32_e64 v32, v226, v228, s[74:75]                // 0000000081D0: D1000020 012BC9E2
	v_cmp_u_f32_e64 s[74:75], v61, v61                         // 0000000081D8: D048004A 00027B3D
	v_add3_u32 v226, v61, v229, 1                              // 0000000081E0: D1FF00E2 0207CB3D
	v_cndmask_b32_e64 v33, v226, v228, s[74:75]                // 0000000081E8: D1000021 012BC9E2
	v_perm_b32 v168, v33, v32, s64                             // 0000000081F0: D1ED00A8 01024121
	v_cmp_u_f32_e64 s[74:75], v62, v62                         // 0000000081F8: D048004A 00027D3E
	v_add3_u32 v226, v62, v229, 1                              // 000000008200: D1FF00E2 0207CB3E
	v_cndmask_b32_e64 v32, v226, v228, s[74:75]                // 000000008208: D1000020 012BC9E2
	v_cmp_u_f32_e64 s[74:75], v63, v63                         // 000000008210: D048004A 00027F3F
	v_add3_u32 v226, v63, v229, 1                              // 000000008218: D1FF00E2 0207CB3F
	v_cndmask_b32_e64 v33, v226, v228, s[74:75]                // 000000008220: D1000021 012BC9E2
	v_perm_b32 v169, v33, v32, s64                             // 000000008228: D1ED00A9 01024121
	v_mfma_f32_16x16x16_bf16 v[96:99], v[118:119], a[90:91], v[96:99]// 000000008230: D3E10060 1582B576
	v_cmp_u_f32_e64 s[74:75], v64, v64                         // 000000008238: D048004A 00028140
	v_add3_u32 v226, v64, v229, 1                              // 000000008240: D1FF00E2 0207CB40
	v_cndmask_b32_e64 v32, v226, v228, s[74:75]                // 000000008248: D1000020 012BC9E2
	v_cmp_u_f32_e64 s[74:75], v65, v65                         // 000000008250: D048004A 00028341
	v_add3_u32 v226, v65, v229, 1                              // 000000008258: D1FF00E2 0207CB41
	v_cndmask_b32_e64 v33, v226, v228, s[74:75]                // 000000008260: D1000021 012BC9E2
	v_perm_b32 v170, v33, v32, s64                             // 000000008268: D1ED00AA 01024121
	v_cmp_u_f32_e64 s[74:75], v66, v66                         // 000000008270: D048004A 00028542
	v_add3_u32 v226, v66, v229, 1                              // 000000008278: D1FF00E2 0207CB42
	v_cndmask_b32_e64 v32, v226, v228, s[74:75]                // 000000008280: D1000020 012BC9E2
	v_cmp_u_f32_e64 s[74:75], v67, v67                         // 000000008288: D048004A 00028743
	v_add3_u32 v226, v67, v229, 1                              // 000000008290: D1FF00E2 0207CB43
	v_cndmask_b32_e64 v33, v226, v228, s[74:75]                // 000000008298: D1000021 012BC9E2
	v_perm_b32 v171, v33, v32, s64                             // 0000000082A0: D1ED00AB 01024121
	v_cmp_u_f32_e64 s[74:75], v68, v68                         // 0000000082A8: D048004A 00028944
	v_add3_u32 v226, v68, v229, 1                              // 0000000082B0: D1FF00E2 0207CB44
	v_cndmask_b32_e64 v32, v226, v228, s[74:75]                // 0000000082B8: D1000020 012BC9E2
	v_cmp_u_f32_e64 s[74:75], v69, v69                         // 0000000082C0: D048004A 00028B45
	v_add3_u32 v226, v69, v229, 1                              // 0000000082C8: D1FF00E2 0207CB45
	v_cndmask_b32_e64 v33, v226, v228, s[74:75]                // 0000000082D0: D1000021 012BC9E2
	v_perm_b32 v172, v33, v32, s64                             // 0000000082D8: D1ED00AC 01024121
	v_cmp_u_f32_e64 s[74:75], v70, v70                         // 0000000082E0: D048004A 00028D46
	v_add3_u32 v226, v70, v229, 1                              // 0000000082E8: D1FF00E2 0207CB46
	v_cndmask_b32_e64 v32, v226, v228, s[74:75]                // 0000000082F0: D1000020 012BC9E2
	v_cmp_u_f32_e64 s[74:75], v71, v71                         // 0000000082F8: D048004A 00028F47
	v_add3_u32 v226, v71, v229, 1                              // 000000008300: D1FF00E2 0207CB47
	v_cndmask_b32_e64 v33, v226, v228, s[74:75]                // 000000008308: D1000021 012BC9E2
	v_perm_b32 v173, v33, v32, s64                             // 000000008310: D1ED00AD 01024121
	v_cmp_u_f32_e64 s[74:75], v72, v72                         // 000000008318: D048004A 00029148
	v_add3_u32 v226, v72, v229, 1                              // 000000008320: D1FF00E2 0207CB48
	v_cndmask_b32_e64 v32, v226, v228, s[74:75]                // 000000008328: D1000020 012BC9E2
	v_cmp_u_f32_e64 s[74:75], v73, v73                         // 000000008330: D048004A 00029349
	v_add3_u32 v226, v73, v229, 1                              // 000000008338: D1FF00E2 0207CB49
	v_cndmask_b32_e64 v33, v226, v228, s[74:75]                // 000000008340: D1000021 012BC9E2
	v_perm_b32 v174, v33, v32, s64                             // 000000008348: D1ED00AE 01024121
	v_cmp_u_f32_e64 s[74:75], v74, v74                         // 000000008350: D048004A 0002954A
	v_add3_u32 v226, v74, v229, 1                              // 000000008358: D1FF00E2 0207CB4A
	v_cndmask_b32_e64 v32, v226, v228, s[74:75]                // 000000008360: D1000020 012BC9E2
	v_cmp_u_f32_e64 s[74:75], v75, v75                         // 000000008368: D048004A 0002974B
	v_add3_u32 v226, v75, v229, 1                              // 000000008370: D1FF00E2 0207CB4B
	v_cndmask_b32_e64 v33, v226, v228, s[74:75]                // 000000008378: D1000021 012BC9E2
	v_perm_b32 v175, v33, v32, s64                             // 000000008380: D1ED00AF 01024121
	v_mfma_f32_16x16x16_bf16 v[96:99], v[120:121], a[92:93], v[96:99]// 000000008388: D3E10060 1582B978
	v_add_u32_e32 v6, s66, v6                                  // 000000008390: 680C0C42
	v_add_u32_e32 v7, s66, v7                                  // 000000008394: 680E0E42
	v_add_u32_e32 v8, s66, v8                                  // 000000008398: 68101042
	v_add_u32_e32 v9, s66, v9                                  // 00000000839C: 68121242
	v_mfma_f32_16x16x16_bf16 v[96:99], v[122:123], a[94:95], v[96:99]// 0000000083A0: D3E10060 1582BD7A
	s_waitcnt lgkmcnt(0)                                       // 0000000083A8: BF8CC07F
	s_barrier                                                  // 0000000083AC: BF8A0000
	v_mfma_f32_16x16x16_bf16 v[178:181], v[124:125], v[164:165], v[178:181]// 0000000083B0: D3E100B2 06CB497C
	v_subrev_f32_dpp v76, v176, v76 quad_perm:[0,0,0,0] row_mask:0xf bank_mask:0xf// 0000000083B8: 069898FA FF0000B0
	v_subrev_f32_dpp v77, v176, v77 quad_perm:[1,1,1,1] row_mask:0xf bank_mask:0xf// 0000000083C0: 069A9AFA FF0055B0
	v_subrev_f32_dpp v78, v176, v78 quad_perm:[2,2,2,2] row_mask:0xf bank_mask:0xf// 0000000083C8: 069C9CFA FF00AAB0
	v_subrev_f32_dpp v79, v176, v79 quad_perm:[3,3,3,3] row_mask:0xf bank_mask:0xf// 0000000083D0: 069E9EFA FF00FFB0
	v_subrev_f32_dpp v80, v176, v80 quad_perm:[0,0,0,0] row_mask:0xf bank_mask:0xf// 0000000083D8: 06A0A0FA FF0000B0
	v_subrev_f32_dpp v81, v176, v81 quad_perm:[1,1,1,1] row_mask:0xf bank_mask:0xf// 0000000083E0: 06A2A2FA FF0055B0
	v_mfma_f32_16x16x16_bf16 v[182:185], v[126:127], v[164:165], v[182:185]// 0000000083E8: D3E100B6 06DB497E
	v_subrev_f32_dpp v82, v176, v82 quad_perm:[2,2,2,2] row_mask:0xf bank_mask:0xf// 0000000083F0: 06A4A4FA FF00AAB0
	v_subrev_f32_dpp v83, v176, v83 quad_perm:[3,3,3,3] row_mask:0xf bank_mask:0xf// 0000000083F8: 06A6A6FA FF00FFB0
	v_subrev_f32_dpp v84, v176, v84 quad_perm:[0,0,0,0] row_mask:0xf bank_mask:0xf// 000000008400: 06A8A8FA FF0000B0
	v_subrev_f32_dpp v85, v176, v85 quad_perm:[1,1,1,1] row_mask:0xf bank_mask:0xf// 000000008408: 06AAAAFA FF0055B0
	v_subrev_f32_dpp v86, v176, v86 quad_perm:[2,2,2,2] row_mask:0xf bank_mask:0xf// 000000008410: 06ACACFA FF00AAB0
	v_subrev_f32_dpp v87, v176, v87 quad_perm:[3,3,3,3] row_mask:0xf bank_mask:0xf// 000000008418: 06AEAEFA FF00FFB0
	v_mfma_f32_16x16x16_bf16 v[186:189], v[128:129], v[164:165], v[186:189]// 000000008420: D3E100BA 06EB4980
	v_mul_f32_e32 v76, v52, v76                                // 000000008428: 0A989934
	v_mul_f32_e32 v77, v53, v77                                // 00000000842C: 0A9A9B35
	v_mul_f32_e32 v78, v54, v78                                // 000000008430: 0A9C9D36
	v_mul_f32_e32 v79, v55, v79                                // 000000008434: 0A9E9F37
	v_mul_f32_e32 v80, v56, v80                                // 000000008438: 0AA0A138
	v_mul_f32_e32 v81, v57, v81                                // 00000000843C: 0AA2A339
	v_mfma_f32_16x16x16_bf16 v[190:193], v[130:131], v[164:165], v[190:193]// 000000008440: D3E100BE 06FB4982
	v_mul_f32_e32 v82, v58, v82                                // 000000008448: 0AA4A53A
	v_mul_f32_e32 v83, v59, v83                                // 00000000844C: 0AA6A73B
	v_mul_f32_e32 v84, v60, v84                                // 000000008450: 0AA8A93C
	v_mul_f32_e32 v85, v61, v85                                // 000000008454: 0AAAAB3D
	v_mul_f32_e32 v86, v62, v86                                // 000000008458: 0AACAD3E
	v_mul_f32_e32 v87, v63, v87                                // 00000000845C: 0AAEAF3F
	v_mfma_f32_16x16x16_bf16 v[194:197], v[124:125], v[166:167], v[194:197]// 000000008460: D3E100C2 070B4D7C
	v_cmp_u_f32_e64 s[74:75], v76, v76                         // 000000008468: D048004A 0002994C
	v_add3_u32 v226, v76, v229, 1                              // 000000008470: D1FF00E2 0207CB4C
	v_cndmask_b32_e64 v32, v226, v228, s[74:75]                // 000000008478: D1000020 012BC9E2
	v_cmp_u_f32_e64 s[74:75], v77, v77                         // 000000008480: D048004A 00029B4D
	v_add3_u32 v226, v77, v229, 1                              // 000000008488: D1FF00E2 0207CB4D
	v_cndmask_b32_e64 v33, v226, v228, s[74:75]                // 000000008490: D1000021 012BC9E2
	v_perm_b32 v76, v33, v32, s64                              // 000000008498: D1ED004C 01024121
	v_cmp_u_f32_e64 s[74:75], v78, v78                         // 0000000084A0: D048004A 00029D4E
	v_add3_u32 v226, v78, v229, 1                              // 0000000084A8: D1FF00E2 0207CB4E
	v_cndmask_b32_e64 v32, v226, v228, s[74:75]                // 0000000084B0: D1000020 012BC9E2
	v_cmp_u_f32_e64 s[74:75], v79, v79                         // 0000000084B8: D048004A 00029F4F
	v_add3_u32 v226, v79, v229, 1                              // 0000000084C0: D1FF00E2 0207CB4F
	v_cndmask_b32_e64 v33, v226, v228, s[74:75]                // 0000000084C8: D1000021 012BC9E2
	v_perm_b32 v77, v33, v32, s64                              // 0000000084D0: D1ED004D 01024121
	v_cmp_u_f32_e64 s[74:75], v80, v80                         // 0000000084D8: D048004A 0002A150
	v_add3_u32 v226, v80, v229, 1                              // 0000000084E0: D1FF00E2 0207CB50
	v_cndmask_b32_e64 v32, v226, v228, s[74:75]                // 0000000084E8: D1000020 012BC9E2
	v_cmp_u_f32_e64 s[74:75], v81, v81                         // 0000000084F0: D048004A 0002A351
	v_add3_u32 v226, v81, v229, 1                              // 0000000084F8: D1FF00E2 0207CB51
	v_cndmask_b32_e64 v33, v226, v228, s[74:75]                // 000000008500: D1000021 012BC9E2
	v_perm_b32 v78, v33, v32, s64                              // 000000008508: D1ED004E 01024121
	v_cmp_u_f32_e64 s[74:75], v82, v82                         // 000000008510: D048004A 0002A552
	v_add3_u32 v226, v82, v229, 1                              // 000000008518: D1FF00E2 0207CB52
	v_cndmask_b32_e64 v32, v226, v228, s[74:75]                // 000000008520: D1000020 012BC9E2
	v_cmp_u_f32_e64 s[74:75], v83, v83                         // 000000008528: D048004A 0002A753
	v_add3_u32 v226, v83, v229, 1                              // 000000008530: D1FF00E2 0207CB53
	v_cndmask_b32_e64 v33, v226, v228, s[74:75]                // 000000008538: D1000021 012BC9E2
	v_perm_b32 v79, v33, v32, s64                              // 000000008540: D1ED004F 01024121
	v_cmp_u_f32_e64 s[74:75], v84, v84                         // 000000008548: D048004A 0002A954
	v_add3_u32 v226, v84, v229, 1                              // 000000008550: D1FF00E2 0207CB54
	v_cndmask_b32_e64 v32, v226, v228, s[74:75]                // 000000008558: D1000020 012BC9E2
	v_cmp_u_f32_e64 s[74:75], v85, v85                         // 000000008560: D048004A 0002AB55
	v_add3_u32 v226, v85, v229, 1                              // 000000008568: D1FF00E2 0207CB55
	v_cndmask_b32_e64 v33, v226, v228, s[74:75]                // 000000008570: D1000021 012BC9E2
	v_perm_b32 v80, v33, v32, s64                              // 000000008578: D1ED0050 01024121
	v_cmp_u_f32_e64 s[74:75], v86, v86                         // 000000008580: D048004A 0002AD56
	v_add3_u32 v226, v86, v229, 1                              // 000000008588: D1FF00E2 0207CB56
	v_cndmask_b32_e64 v32, v226, v228, s[74:75]                // 000000008590: D1000020 012BC9E2
	v_cmp_u_f32_e64 s[74:75], v87, v87                         // 000000008598: D048004A 0002AF57
	v_add3_u32 v226, v87, v229, 1                              // 0000000085A0: D1FF00E2 0207CB57
	v_cndmask_b32_e64 v33, v226, v228, s[74:75]                // 0000000085A8: D1000021 012BC9E2
	v_perm_b32 v81, v33, v32, s64                              // 0000000085B0: D1ED0051 01024121
	v_mfma_f32_16x16x16_bf16 v[198:201], v[126:127], v[166:167], v[198:201]// 0000000085B8: D3E100C6 071B4D7E
	v_mov_b32_dpp v18, v76 quad_perm:[1,0,3,2] row_mask:0xf bank_mask:0xf// 0000000085C0: 7E2402FA FF00B14C
	v_perm_b32 v52, v18, v76, v17                              // 0000000085C8: D1ED0034 04469912
	v_mov_b32_dpp v18, v77 quad_perm:[1,0,3,2] row_mask:0xf bank_mask:0xf// 0000000085D0: 7E2402FA FF00B14D
	v_perm_b32 v53, v18, v77, v17                              // 0000000085D8: D1ED0035 04469B12
	v_mov_b32_dpp v18, v78 quad_perm:[1,0,3,2] row_mask:0xf bank_mask:0xf// 0000000085E0: 7E2402FA FF00B14E
	v_perm_b32 v54, v18, v78, v17                              // 0000000085E8: D1ED0036 04469D12
	v_mfma_f32_16x16x16_bf16 v[202:205], v[128:129], v[166:167], v[202:205]// 0000000085F0: D3E100CA 072B4D80
	ds_write_b32 v20, v52 offset:17408                         // 0000000085F8: D81A4400 00003414
	ds_write_b32 v20, v53 offset:17952                         // 000000008600: D81A4620 00003514
	v_mfma_f32_16x16x16_bf16 v[206:209], v[130:131], v[166:167], v[206:209]// 000000008608: D3E100CE 073B4D82
	v_mov_b32_dpp v18, v79 quad_perm:[1,0,3,2] row_mask:0xf bank_mask:0xf// 000000008610: 7E2402FA FF00B14F
	v_perm_b32 v55, v18, v79, v17                              // 000000008618: D1ED0037 04469F12
	v_mov_b32_dpp v18, v80 quad_perm:[1,0,3,2] row_mask:0xf bank_mask:0xf// 000000008620: 7E2402FA FF00B150
	v_perm_b32 v56, v18, v80, v17                              // 000000008628: D1ED0038 0446A112
	v_mov_b32_dpp v18, v81 quad_perm:[1,0,3,2] row_mask:0xf bank_mask:0xf// 000000008630: 7E2402FA FF00B151
	v_perm_b32 v57, v18, v81, v17                              // 000000008638: D1ED0039 0446A312
	v_mfma_f32_16x16x16_bf16 v[210:213], v[124:125], v[168:169], v[210:213]// 000000008640: D3E100D2 074B517C
	ds_write_b32 v20, v54 offset:19712                         // 000000008648: D81A4D00 00003614
	ds_write_b32 v20, v55 offset:20256                         // 000000008650: D81A4F20 00003714
	v_mfma_f32_16x16x16_bf16 v[214:217], v[126:127], v[168:169], v[214:217]// 000000008658: D3E100D6 075B517E
	v_subrev_f32_dpp v88, v177, v88 quad_perm:[0,0,0,0] row_mask:0xf bank_mask:0xf// 000000008660: 06B0B0FA FF0000B1
	v_subrev_f32_dpp v89, v177, v89 quad_perm:[1,1,1,1] row_mask:0xf bank_mask:0xf// 000000008668: 06B2B2FA FF0055B1
	v_subrev_f32_dpp v90, v177, v90 quad_perm:[2,2,2,2] row_mask:0xf bank_mask:0xf// 000000008670: 06B4B4FA FF00AAB1
	v_subrev_f32_dpp v91, v177, v91 quad_perm:[3,3,3,3] row_mask:0xf bank_mask:0xf// 000000008678: 06B6B6FA FF00FFB1
	v_subrev_f32_dpp v92, v177, v92 quad_perm:[0,0,0,0] row_mask:0xf bank_mask:0xf// 000000008680: 06B8B8FA FF0000B1
	v_subrev_f32_dpp v93, v177, v93 quad_perm:[1,1,1,1] row_mask:0xf bank_mask:0xf// 000000008688: 06BABAFA FF0055B1
	v_mfma_f32_16x16x16_bf16 v[218:221], v[128:129], v[168:169], v[218:221]// 000000008690: D3E100DA 076B5180
	ds_write_b32 v20, v56 offset:22016                         // 000000008698: D81A5600 00003814
	ds_write_b32 v20, v57 offset:22560                         // 0000000086A0: D81A5820 00003914
	v_mfma_f32_16x16x16_bf16 v[222:225], v[130:131], v[168:169], v[222:225]// 0000000086A8: D3E100DE 077B5182
	v_subrev_f32_dpp v94, v177, v94 quad_perm:[2,2,2,2] row_mask:0xf bank_mask:0xf// 0000000086B0: 06BCBCFA FF00AAB1
	v_subrev_f32_dpp v95, v177, v95 quad_perm:[3,3,3,3] row_mask:0xf bank_mask:0xf// 0000000086B8: 06BEBEFA FF00FFB1
	v_subrev_f32_dpp v96, v177, v96 quad_perm:[0,0,0,0] row_mask:0xf bank_mask:0xf// 0000000086C0: 06C0C0FA FF0000B1
	v_subrev_f32_dpp v97, v177, v97 quad_perm:[1,1,1,1] row_mask:0xf bank_mask:0xf// 0000000086C8: 06C2C2FA FF0055B1
	v_subrev_f32_dpp v98, v177, v98 quad_perm:[2,2,2,2] row_mask:0xf bank_mask:0xf// 0000000086D0: 06C4C4FA FF00AAB1
	v_subrev_f32_dpp v99, v177, v99 quad_perm:[3,3,3,3] row_mask:0xf bank_mask:0xf// 0000000086D8: 06C6C6FA FF00FFB1
	v_mfma_f32_16x16x16_bf16 v[178:181], v[132:133], v[170:171], v[178:181]// 0000000086E0: D3E100B2 06CB5584
	v_mul_f32_e32 v88, v64, v88                                // 0000000086E8: 0AB0B140
	v_mul_f32_e32 v89, v65, v89                                // 0000000086EC: 0AB2B341
	v_mul_f32_e32 v90, v66, v90                                // 0000000086F0: 0AB4B542
	v_mul_f32_e32 v91, v67, v91                                // 0000000086F4: 0AB6B743
	v_mul_f32_e32 v92, v68, v92                                // 0000000086F8: 0AB8B944
	v_mul_f32_e32 v93, v69, v93                                // 0000000086FC: 0ABABB45
	v_mfma_f32_16x16x16_bf16 v[182:185], v[134:135], v[170:171], v[182:185]// 000000008700: D3E100B6 06DB5586
	v_mul_f32_e32 v94, v70, v94                                // 000000008708: 0ABCBD46
	v_mul_f32_e32 v95, v71, v95                                // 00000000870C: 0ABEBF47
	v_mul_f32_e32 v96, v72, v96                                // 000000008710: 0AC0C148
	v_mul_f32_e32 v97, v73, v97                                // 000000008714: 0AC2C349
	v_mul_f32_e32 v98, v74, v98                                // 000000008718: 0AC4C54A
	v_mul_f32_e32 v99, v75, v99                                // 00000000871C: 0AC6C74B
	v_mfma_f32_16x16x16_bf16 v[186:189], v[136:137], v[170:171], v[186:189]// 000000008720: D3E100BA 06EB5588
	v_cmp_u_f32_e64 s[74:75], v88, v88                         // 000000008728: D048004A 0002B158
	v_add3_u32 v226, v88, v229, 1                              // 000000008730: D1FF00E2 0207CB58
	v_cndmask_b32_e64 v32, v226, v228, s[74:75]                // 000000008738: D1000020 012BC9E2
	v_cmp_u_f32_e64 s[74:75], v89, v89                         // 000000008740: D048004A 0002B359
	v_add3_u32 v226, v89, v229, 1                              // 000000008748: D1FF00E2 0207CB59
	v_cndmask_b32_e64 v33, v226, v228, s[74:75]                // 000000008750: D1000021 012BC9E2
	v_perm_b32 v82, v33, v32, s64                              // 000000008758: D1ED0052 01024121
	v_cmp_u_f32_e64 s[74:75], v90, v90                         // 000000008760: D048004A 0002B55A
	v_add3_u32 v226, v90, v229, 1                              // 000000008768: D1FF00E2 0207CB5A
	v_cndmask_b32_e64 v32, v226, v228, s[74:75]                // 000000008770: D1000020 012BC9E2
	v_cmp_u_f32_e64 s[74:75], v91, v91                         // 000000008778: D048004A 0002B75B
	v_add3_u32 v226, v91, v229, 1                              // 000000008780: D1FF00E2 0207CB5B
	v_cndmask_b32_e64 v33, v226, v228, s[74:75]                // 000000008788: D1000021 012BC9E2
	v_perm_b32 v83, v33, v32, s64                              // 000000008790: D1ED0053 01024121
	v_cmp_u_f32_e64 s[74:75], v92, v92                         // 000000008798: D048004A 0002B95C
	v_add3_u32 v226, v92, v229, 1                              // 0000000087A0: D1FF00E2 0207CB5C
	v_cndmask_b32_e64 v32, v226, v228, s[74:75]                // 0000000087A8: D1000020 012BC9E2
	v_cmp_u_f32_e64 s[74:75], v93, v93                         // 0000000087B0: D048004A 0002BB5D
	v_add3_u32 v226, v93, v229, 1                              // 0000000087B8: D1FF00E2 0207CB5D
	v_cndmask_b32_e64 v33, v226, v228, s[74:75]                // 0000000087C0: D1000021 012BC9E2
	v_perm_b32 v84, v33, v32, s64                              // 0000000087C8: D1ED0054 01024121
	v_cmp_u_f32_e64 s[74:75], v94, v94                         // 0000000087D0: D048004A 0002BD5E
	v_add3_u32 v226, v94, v229, 1                              // 0000000087D8: D1FF00E2 0207CB5E
	v_cndmask_b32_e64 v32, v226, v228, s[74:75]                // 0000000087E0: D1000020 012BC9E2
	v_cmp_u_f32_e64 s[74:75], v95, v95                         // 0000000087E8: D048004A 0002BF5F
	v_add3_u32 v226, v95, v229, 1                              // 0000000087F0: D1FF00E2 0207CB5F
	v_cndmask_b32_e64 v33, v226, v228, s[74:75]                // 0000000087F8: D1000021 012BC9E2
	v_perm_b32 v85, v33, v32, s64                              // 000000008800: D1ED0055 01024121
	v_cmp_u_f32_e64 s[74:75], v96, v96                         // 000000008808: D048004A 0002C160
	v_add3_u32 v226, v96, v229, 1                              // 000000008810: D1FF00E2 0207CB60
	v_cndmask_b32_e64 v32, v226, v228, s[74:75]                // 000000008818: D1000020 012BC9E2
	v_cmp_u_f32_e64 s[74:75], v97, v97                         // 000000008820: D048004A 0002C361
	v_add3_u32 v226, v97, v229, 1                              // 000000008828: D1FF00E2 0207CB61
	v_cndmask_b32_e64 v33, v226, v228, s[74:75]                // 000000008830: D1000021 012BC9E2
	v_perm_b32 v86, v33, v32, s64                              // 000000008838: D1ED0056 01024121
	v_cmp_u_f32_e64 s[74:75], v98, v98                         // 000000008840: D048004A 0002C562
	v_add3_u32 v226, v98, v229, 1                              // 000000008848: D1FF00E2 0207CB62
	v_cndmask_b32_e64 v32, v226, v228, s[74:75]                // 000000008850: D1000020 012BC9E2
	v_cmp_u_f32_e64 s[74:75], v99, v99                         // 000000008858: D048004A 0002C763
	v_add3_u32 v226, v99, v229, 1                              // 000000008860: D1FF00E2 0207CB63
	v_cndmask_b32_e64 v33, v226, v228, s[74:75]                // 000000008868: D1000021 012BC9E2
	v_perm_b32 v87, v33, v32, s64                              // 000000008870: D1ED0057 01024121
	v_mfma_f32_16x16x16_bf16 v[190:193], v[138:139], v[170:171], v[190:193]// 000000008878: D3E100BE 06FB558A
	v_mov_b32_dpp v18, v82 quad_perm:[1,0,3,2] row_mask:0xf bank_mask:0xf// 000000008880: 7E2402FA FF00B152
	v_perm_b32 v58, v18, v82, v17                              // 000000008888: D1ED003A 0446A512
	v_mov_b32_dpp v18, v83 quad_perm:[1,0,3,2] row_mask:0xf bank_mask:0xf// 000000008890: 7E2402FA FF00B153
	v_perm_b32 v59, v18, v83, v17                              // 000000008898: D1ED003B 0446A712
	v_mov_b32_dpp v18, v84 quad_perm:[1,0,3,2] row_mask:0xf bank_mask:0xf// 0000000088A0: 7E2402FA FF00B154
	v_perm_b32 v60, v18, v84, v17                              // 0000000088A8: D1ED003C 0446A912
	v_mfma_f32_16x16x16_bf16 v[194:197], v[132:133], v[172:173], v[194:197]// 0000000088B0: D3E100C2 070B5984
	ds_write_b32 v20, v58 offset:24320                         // 0000000088B8: D81A5F00 00003A14
	ds_write_b32 v20, v59 offset:24864                         // 0000000088C0: D81A6120 00003B14
	v_mfma_f32_16x16x16_bf16 v[198:201], v[134:135], v[172:173], v[198:201]// 0000000088C8: D3E100C6 071B5986
	v_mov_b32_dpp v18, v85 quad_perm:[1,0,3,2] row_mask:0xf bank_mask:0xf// 0000000088D0: 7E2402FA FF00B155
	v_perm_b32 v61, v18, v85, v17                              // 0000000088D8: D1ED003D 0446AB12
	v_mov_b32_dpp v18, v86 quad_perm:[1,0,3,2] row_mask:0xf bank_mask:0xf// 0000000088E0: 7E2402FA FF00B156
	v_perm_b32 v62, v18, v86, v17                              // 0000000088E8: D1ED003E 0446AD12
	v_mov_b32_dpp v18, v87 quad_perm:[1,0,3,2] row_mask:0xf bank_mask:0xf// 0000000088F0: 7E2402FA FF00B157
	v_perm_b32 v63, v18, v87, v17                              // 0000000088F8: D1ED003F 0446AF12
	v_mfma_f32_16x16x16_bf16 v[202:205], v[136:137], v[172:173], v[202:205]// 000000008900: D3E100CA 072B5988
	ds_write_b32 v20, v60 offset:26624                         // 000000008908: D81A6800 00003C14
	ds_write_b32 v20, v61 offset:27168                         // 000000008910: D81A6A20 00003D14
	ds_write_b32 v20, v62 offset:28928                         // 000000008918: D81A7100 00003E14
	ds_write_b32 v20, v63 offset:29472                         // 000000008920: D81A7320 00003F14
	v_mfma_f32_16x16x16_bf16 v[206:209], v[138:139], v[172:173], v[206:209]// 000000008928: D3E100CE 073B598A
	v_mfma_f32_16x16x16_bf16 v[210:213], v[132:133], v[174:175], v[210:213]// 000000008930: D3E100D2 074B5D84
	ds_write_b32 v15, v100 offset:4352                         // 000000008938: D81A1100 0000640F
	ds_write_b32 v15, v101 offset:5408                         // 000000008940: D81A1520 0000650F
	v_mfma_f32_16x16x16_bf16 v[214:217], v[134:135], v[174:175], v[214:217]// 000000008948: D3E100D6 075B5D86
	v_mfma_f32_16x16x16_bf16 v[218:221], v[136:137], v[174:175], v[218:221]// 000000008950: D3E100DA 076B5D88
	ds_write_b32 v15, v102 offset:6528                         // 000000008958: D81A1980 0000660F
	ds_write_b32 v15, v103 offset:7584                         // 000000008960: D81A1DA0 0000670F
	v_mfma_f32_16x16x16_bf16 v[222:225], v[138:139], v[174:175], v[222:225]// 000000008968: D3E100DE 077B5D8A
	s_nop 0                                                    // 000000008970: BF800000
	s_nop 0                                                    // 000000008974: BF800000
	;; [unrolled: 1-line block ×3, first 2 shown]
	s_barrier                                                  // 00000000897C: BF8A0000
	v_mfma_f32_16x16x16_bf16 a[112:115], a[96:97], v[76:77], a[112:115]// 000000008980: D3E18070 0DC29960
	ds_read_b32 v140, v23 offset:39936                         // 000000008988: D86C9C00 8C000017
	ds_read_b32 v144, v23 offset:40000                         // 000000008990: D86C9C40 90000017
	ds_read_b32 v176, v23 offset:40192                         // 000000008998: D86C9D00 B0000017
	ds_read_b32 v177, v23 offset:40256                         // 0000000089A0: D86C9D40 B1000017
	v_mfma_f32_16x16x16_bf16 a[116:119], a[98:99], v[76:77], a[116:119]// 0000000089A8: D3E18074 0DD29962
	buffer_atomic_add_f32 v156, v6, s[32:35], 0 idxen          // 0000000089B0: E1342000 80089C06
	v_mfma_f32_16x16x16_bf16 a[120:123], a[100:101], v[76:77], a[120:123]// 0000000089B8: D3E18078 0DE29964
	s_waitcnt lgkmcnt(8)                                       // 0000000089C0: BF8CC87F
	s_barrier                                                  // 0000000089C4: BF8A0000
	v_mfma_f32_16x16x16_bf16 a[124:127], a[102:103], v[76:77], a[124:127]// 0000000089C8: D3E1807C 0DF29966
	v_mfma_f32_16x16x16_bf16 a[128:131], a[96:97], v[78:79], a[128:131]// 0000000089D0: D3E18080 0E029D60
	ds_read_b128 v[52:55], v19 offset:17408                    // 0000000089D8: D9FE4400 34000013
	v_mfma_f32_16x16x16_bf16 a[132:135], a[98:99], v[78:79], a[132:135]// 0000000089E0: D3E18084 0E129D62
	v_mfma_f32_16x16x16_bf16 a[136:139], a[100:101], v[78:79], a[136:139]// 0000000089E8: D3E18088 0E229D64
	ds_read_b128 v[56:59], v19 offset:18560                    // 0000000089F0: D9FE4880 38000013
	v_mfma_f32_16x16x16_bf16 a[140:143], a[102:103], v[78:79], a[140:143]// 0000000089F8: D3E1808C 0E329D66
	buffer_atomic_add_f32 v157, v7, s[32:35], 0 idxen          // 000000008A00: E1342000 80089D07
	v_mfma_f32_16x16x16_bf16 a[144:147], a[96:97], v[80:81], a[144:147]// 000000008A08: D3E18090 0E42A160
	ds_read_b128 v[60:63], v19 offset:19712                    // 000000008A10: D9FE4D00 3C000013
	v_mfma_f32_16x16x16_bf16 a[148:151], a[98:99], v[80:81], a[148:151]// 000000008A18: D3E18094 0E52A162
	v_mfma_f32_16x16x16_bf16 a[152:155], a[100:101], v[80:81], a[152:155]// 000000008A20: D3E18098 0E62A164
	ds_read_b128 v[64:67], v19 offset:20864                    // 000000008A28: D9FE5180 40000013
	v_mfma_f32_16x16x16_bf16 a[156:159], a[102:103], v[80:81], a[156:159]// 000000008A30: D3E1809C 0E72A166
	v_mfma_f32_16x16x16_bf16 a[112:115], a[104:105], v[82:83], a[112:115]// 000000008A38: D3E18070 0DC2A568
	ds_read_b128 v[68:71], v19 offset:22016                    // 000000008A40: D9FE5600 44000013
	v_mfma_f32_16x16x16_bf16 a[116:119], a[106:107], v[82:83], a[116:119]// 000000008A48: D3E18074 0DD2A56A
	buffer_atomic_add_f32 v158, v6, s[32:35], 0 idxen offset:128// 000000008A50: E1342080 80089E06
	v_mfma_f32_16x16x16_bf16 a[120:123], a[108:109], v[82:83], a[120:123]// 000000008A58: D3E18078 0DE2A56C
	ds_read_b128 v[72:75], v19 offset:23168                    // 000000008A60: D9FE5A80 48000013
	v_mfma_f32_16x16x16_bf16 a[124:127], a[110:111], v[82:83], a[124:127]// 000000008A68: D3E1807C 0DF2A56E
	v_mfma_f32_16x16x16_bf16 a[128:131], a[104:105], v[84:85], a[128:131]// 000000008A70: D3E18080 0E02A968
	ds_write_b32 v15, v104 offset:13056                        // 000000008A78: D81A3300 0000680F
	v_mfma_f32_16x16x16_bf16 a[132:135], a[106:107], v[84:85], a[132:135]// 000000008A80: D3E18084 0E12A96A
	v_mfma_f32_16x16x16_bf16 a[136:139], a[108:109], v[84:85], a[136:139]// 000000008A88: D3E18088 0E22A96C
	ds_write_b32 v15, v105 offset:14112                        // 000000008A90: D81A3720 0000690F
	v_mfma_f32_16x16x16_bf16 a[140:143], a[110:111], v[84:85], a[140:143]// 000000008A98: D3E1808C 0E32A96E
	buffer_atomic_add_f32 v159, v7, s[32:35], 0 idxen offset:128// 000000008AA0: E1342080 80089F07
	v_mfma_f32_16x16x16_bf16 a[144:147], a[104:105], v[86:87], a[144:147]// 000000008AA8: D3E18090 0E42AD68
	ds_write_b32 v15, v106 offset:15232                        // 000000008AB0: D81A3B80 00006A0F
	v_mfma_f32_16x16x16_bf16 a[148:151], a[106:107], v[86:87], a[148:151]// 000000008AB8: D3E18094 0E52AD6A
	v_mfma_f32_16x16x16_bf16 a[152:155], a[108:109], v[86:87], a[152:155]// 000000008AC0: D3E18098 0E62AD6C
	ds_write_b32 v15, v107 offset:16288                        // 000000008AC8: D81A3FA0 00006B0F
	v_mfma_f32_16x16x16_bf16 a[156:159], a[110:111], v[86:87], a[156:159]// 000000008AD0: D3E1809C 0E72AD6E
	s_waitcnt vmcnt(8) lgkmcnt(4)                              // 000000008AD8: BF8C0478
	s_barrier                                                  // 000000008ADC: BF8A0000
	v_mfma_f32_16x16x16_bf16 v[148:151], v[52:53], a[24:25], 0 // 000000008AE0: D3E10094 12023134
	ds_read_b128 a[96:99], v12                                 // 000000008AE8: DBFE0000 6000000C
	buffer_load_dword v40, v1, s[8:11], 0 idxen                // 000000008AF0: E0502000 80022801
	v_mfma_f32_16x16x16_bf16 v[148:151], v[54:55], a[28:29], v[148:151]// 000000008AF8: D3E10094 16523936
	v_mul_f32_e32 v140, s48, v140                              // 000000008B00: 0B191830
	v_mul_f32_e32 v144, s48, v144                              // 000000008B04: 0B212030
	s_nop 0                                                    // 000000008B08: BF800000
	v_mfma_f32_16x16x16_bf16 v[148:151], v[56:57], a[32:33], v[148:151]// 000000008B0C: D3E10094 16524138
	ds_read_b128 a[100:103], v12 offset:512                    // 000000008B14: DBFE0200 6400000C
	buffer_load_dword v41, v2, s[8:11], 0 idxen                // 000000008B1C: E0502000 80022902
	v_mfma_f32_16x16x16_bf16 v[148:151], v[58:59], a[36:37], v[148:151]// 000000008B24: D3E10094 1652493A
	v_mfma_f32_16x16x16_bf16 v[148:151], v[60:61], a[40:41], v[148:151]// 000000008B2C: D3E10094 1652513C
	ds_read_b128 a[104:107], v12 offset:2176                   // 000000008B34: DBFE0880 6800000C
	buffer_load_dword v42, v3, s[8:11], 0 idxen                // 000000008B3C: E0502000 80022A03
	v_mfma_f32_16x16x16_bf16 v[148:151], v[62:63], a[44:45], v[148:151]// 000000008B44: D3E10094 1652593E
	v_perm_b32 v100, v37, v36, s63                             // 000000008B4C: D1ED0064 00FE4925
	v_perm_b32 v101, v37, v36, s64                             // 000000008B54: D1ED0065 01024925
	v_mfma_f32_16x16x16_bf16 v[148:151], v[64:65], a[48:49], v[148:151]// 000000008B5C: D3E10094 16526140
	ds_read_b128 a[108:111], v12 offset:2688                   // 000000008B64: DBFE0A80 6C00000C
	buffer_load_dword v43, v4, s[8:11], 0 idxen                // 000000008B6C: E0502000 80022B04
	v_mfma_f32_16x16x16_bf16 v[148:151], v[66:67], a[52:53], v[148:151]// 000000008B74: D3E10094 16526942
	v_perm_b32 v102, v39, v38, s63                             // 000000008B7C: D1ED0066 00FE4D27
	v_perm_b32 v103, v39, v38, s64                             // 000000008B84: D1ED0067 01024D27
	v_mfma_f32_16x16x16_bf16 v[148:151], v[68:69], a[56:57], v[148:151]// 000000008B8C: D3E10094 16527144
	ds_read_b128 v[108:111], v12 offset:8704                   // 000000008B94: D9FE2200 6C00000C
	buffer_load_dword v48, v231, s[20:23], 0 idxen             // 000000008B9C: E0502000 800530E7
	v_mfma_f32_16x16x16_bf16 v[148:151], v[70:71], a[60:61], v[148:151]// 000000008BA4: D3E10094 16527946
	v_perm_b32 v104, v45, v44, s63                             // 000000008BAC: D1ED0068 00FE592D
	v_perm_b32 v105, v45, v44, s64                             // 000000008BB4: D1ED0069 0102592D
	v_mfma_f32_16x16x16_bf16 v[148:151], v[72:73], a[64:65], v[148:151]// 000000008BBC: D3E10094 16528148
	ds_read_b128 v[112:115], v12 offset:9216                   // 000000008BC4: D9FE2400 7000000C
	buffer_load_dword v49, v232, s[20:23], 0 idxen             // 000000008BCC: E0502000 800531E8
	v_mfma_f32_16x16x16_bf16 v[148:151], v[74:75], a[68:69], v[148:151]// 000000008BD4: D3E10094 1652894A
	v_perm_b32 v106, v47, v46, s63                             // 000000008BDC: D1ED006A 00FE5D2F
	v_perm_b32 v107, v47, v46, s64                             // 000000008BE4: D1ED006B 01025D2F
	v_mfma_f32_16x16x16_bf16 v[152:155], v[52:53], a[26:27], 0 // 000000008BEC: D3E10098 12023534
	ds_read_b128 v[116:119], v12 offset:10880                  // 000000008BF4: D9FE2A80 7400000C
	buffer_load_dword v50, v233, s[20:23], 0 idxen             // 000000008BFC: E0502000 800532E9
	v_mfma_f32_16x16x16_bf16 v[152:155], v[54:55], a[30:31], v[152:155]// 000000008C04: D3E10098 16623D36
	v_mov_b32_dpp v143, v140 quad_perm:[3,3,3,3] row_mask:0xf bank_mask:0xf// 000000008C0C: 7F1E02FA FF00FF8C
	v_mov_b32_dpp v142, v140 quad_perm:[2,2,2,2] row_mask:0xf bank_mask:0xf// 000000008C14: 7F1C02FA FF00AA8C
	v_mov_b32_dpp v141, v140 quad_perm:[1,1,1,1] row_mask:0xf bank_mask:0xf// 000000008C1C: 7F1A02FA FF00558C
	v_mov_b32_dpp v140, v140 quad_perm:[0,0,0,0] row_mask:0xf bank_mask:0xf// 000000008C24: 7F1802FA FF00008C
	v_mfma_f32_16x16x16_bf16 v[152:155], v[56:57], a[34:35], v[152:155]// 000000008C2C: D3E10098 16624538
	ds_read_b128 v[120:123], v12 offset:11392                  // 000000008C34: D9FE2C80 7800000C
	buffer_load_dword v51, v234, s[20:23], 0 idxen             // 000000008C3C: E0502000 800533EA
	v_mfma_f32_16x16x16_bf16 v[152:155], v[58:59], a[38:39], v[152:155]// 000000008C44: D3E10098 16624D3A
	v_mov_b32_dpp v147, v144 quad_perm:[3,3,3,3] row_mask:0xf bank_mask:0xf// 000000008C4C: 7F2602FA FF00FF90
	v_mov_b32_dpp v146, v144 quad_perm:[2,2,2,2] row_mask:0xf bank_mask:0xf// 000000008C54: 7F2402FA FF00AA90
	v_mov_b32_dpp v145, v144 quad_perm:[1,1,1,1] row_mask:0xf bank_mask:0xf// 000000008C5C: 7F2202FA FF005590
	v_mov_b32_dpp v144, v144 quad_perm:[0,0,0,0] row_mask:0xf bank_mask:0xf// 000000008C64: 7F2002FA FF000090
	s_add_u32 s60, 0x80, s59                                   // 000000008C6C: 803C3BFF 00000080
	v_mfma_f32_16x16x16_bf16 v[152:155], v[60:61], a[42:43], v[152:155]// 000000008C74: D3E10098 1662553C
	buffer_load_dword v11, s[24:27], 0 idxen lds               // 000000008C7C: E0512000 8006000B
	v_mfma_f32_16x16x16_bf16 v[152:155], v[62:63], a[46:47], v[152:155]// 000000008C84: D3E10098 16625D3E
	s_cmp_lt_u32 s60, s58                                      // 000000008C8C: BF0A3A3C
	s_cselect_b32 s68, s68, 0                                  // 000000008C90: 85448044
	s_cselect_b32 s95, s95, 0                                  // 000000008C94: 855F805F
	s_cselect_b32 s69, s69, 0                                  // 000000008C98: 85458045
	v_mfma_f32_16x16x16_bf16 v[152:155], v[64:65], a[50:51], v[152:155]// 000000008C9C: D3E10098 16626540
	v_add_u32_e32 v1, s68, v1                                  // 000000008CA4: 68020244
	v_add_u32_e32 v2, s68, v2                                  // 000000008CA8: 68040444
	v_add_u32_e32 v3, s68, v3                                  // 000000008CAC: 68060644
	v_add_u32_e32 v4, s68, v4                                  // 000000008CB0: 68080844
	v_mfma_f32_16x16x16_bf16 v[152:155], v[66:67], a[54:55], v[152:155]// 000000008CB4: D3E10098 16626D42
	v_add_u32_e32 v231, s95, v231                              // 000000008CBC: 69CFCE5F
	v_add_u32_e32 v232, s95, v232                              // 000000008CC0: 69D1D05F
	v_add_u32_e32 v233, s95, v233                              // 000000008CC4: 69D3D25F
	v_add_u32_e32 v234, s95, v234                              // 000000008CC8: 69D5D45F
	v_mfma_f32_16x16x16_bf16 v[152:155], v[68:69], a[58:59], v[152:155]// 000000008CCC: D3E10098 16627544
	s_mov_b32 m0, s76                                          // 000000008CD4: BEFC004C
	v_add_u32_e32 v11, s69, v11                                // 000000008CD8: 68161645
	v_mfma_f32_16x16x16_bf16 v[152:155], v[70:71], a[62:63], v[152:155]// 000000008CDC: D3E10098 16627D46
	s_cmp_ge_u32 s59, 32                                       // 000000008CE4: BF09A03B
	s_cselect_b32 s66, s67, s66                                // 000000008CE8: 85424243
	v_mfma_f32_16x16x16_bf16 v[152:155], v[72:73], a[66:67], v[152:155]// 000000008CEC: D3E10098 16628548
	s_addk_i32 s59, 0x20                                       // 000000008CF4: B73B0020
	s_nop 0                                                    // 000000008CF8: BF800000
	s_cmp_lt_i32 s59, s58                                      // 000000008CFC: BF043A3B
	v_mfma_f32_16x16x16_bf16 v[152:155], v[74:75], a[70:71], v[152:155]// 000000008D00: D3E10098 16628D4A
	s_cbranch_scc0 label_0EF1                                  // 000000008D08: BF84FB9C
	s_waitcnt lgkmcnt(0)                                       // 000000008D0C: BF8CC07F
	s_barrier                                                  // 000000008D10: BF8A0000
	v_mfma_f32_16x16x16_bf16 v[52:55], a[96:97], a[0:1], 0     // 000000008D14: D3E10034 1A020160
	v_mul_f32_e32 v148, s47, v148                              // 000000008D1C: 0B29282F
	v_mul_f32_e32 v149, s47, v149                              // 000000008D20: 0B2B2A2F
	v_mfma_f32_16x16x16_bf16 v[52:55], a[98:99], a[2:3], v[52:55]// 000000008D24: D3E10034 1CD20562
	ds_write_b32 v13, v44 offset:8704                          // 000000008D2C: D81A2200 00002C0D
	ds_write_b32 v13, v45 offset:9760                          // 000000008D34: D81A2620 00002D0D
	v_mfma_f32_16x16x16_bf16 v[52:55], a[100:101], a[4:5], v[52:55]// 000000008D3C: D3E10034 1CD20964
	v_mul_f32_e32 v150, s47, v150                              // 000000008D44: 0B2D2C2F
	v_mul_f32_e32 v151, s47, v151                              // 000000008D48: 0B2F2E2F
	v_mfma_f32_16x16x16_bf16 v[52:55], a[102:103], a[6:7], v[52:55]// 000000008D4C: D3E10034 1CD20D66
	ds_write_b32 v13, v46 offset:10880                         // 000000008D54: D81A2A80 00002E0D
	ds_write_b32 v13, v47 offset:11936                         // 000000008D5C: D81A2EA0 00002F0D
	v_mfma_f32_16x16x16_bf16 v[56:59], a[96:97], a[8:9], 0     // 000000008D64: D3E10038 1A021160
	v_mul_f32_e32 v152, s47, v152                              // 000000008D6C: 0B31302F
	v_mul_f32_e32 v153, s47, v153                              // 000000008D70: 0B33322F
	v_mfma_f32_16x16x16_bf16 v[56:59], a[98:99], a[10:11], v[56:59]// 000000008D74: D3E10038 1CE21562
	ds_write_b64 v22, v[148:149] offset:31232                  // 000000008D7C: D89A7A00 00009416
	v_mfma_f32_16x16x16_bf16 v[56:59], a[100:101], a[12:13], v[56:59]// 000000008D84: D3E10038 1CE21964
	v_mul_f32_e32 v154, s47, v154                              // 000000008D8C: 0B35342F
	v_mul_f32_e32 v155, s47, v155                              // 000000008D90: 0B37362F
	v_mfma_f32_16x16x16_bf16 v[56:59], a[102:103], a[14:15], v[56:59]// 000000008D94: D3E10038 1CE21D66
	ds_write_b64 v22, v[150:151] offset:31744                  // 000000008D9C: D89A7C00 00009616
	v_mfma_f32_16x16x16_bf16 v[60:63], a[96:97], a[16:17], 0   // 000000008DA4: D3E1003C 1A022160
	buffer_atomic_add_f32 v160, v8, s[32:35], 0 idxen          // 000000008DAC: E1342000 8008A008
	v_mfma_f32_16x16x16_bf16 v[60:63], a[98:99], a[18:19], v[60:63]// 000000008DB4: D3E1003C 1CF22562
	ds_write_b64 v22, v[152:153] offset:32256                  // 000000008DBC: D89A7E00 00009816
	v_mfma_f32_16x16x16_bf16 v[60:63], a[100:101], a[20:21], v[60:63]// 000000008DC4: D3E1003C 1CF22964
	v_mfma_f32_16x16x16_bf16 v[60:63], a[102:103], a[22:23], v[60:63]// 000000008DCC: D3E1003C 1CF22D66
	ds_write_b64 v22, v[154:155] offset:32768                  // 000000008DD4: D89A8000 00009A16
	v_mfma_f32_16x16x16_bf16 v[64:67], a[104:105], a[0:1], 0   // 000000008DDC: D3E10040 1A020168
	buffer_atomic_add_f32 v161, v9, s[32:35], 0 idxen          // 000000008DE4: E1342000 8008A109
	v_mfma_f32_16x16x16_bf16 v[64:67], a[106:107], a[2:3], v[64:67]// 000000008DEC: D3E10040 1D02056A
	ds_read_b128 v[124:127], v14 offset:13056                  // 000000008DF4: D9FE3300 7C00000E
	ds_write_b32 v13, v36                                      // 000000008DFC: D81A0000 0000240D
	v_mfma_f32_16x16x16_bf16 v[64:67], a[108:109], a[4:5], v[64:67]// 000000008E04: D3E10040 1D02096C
	v_mfma_f32_16x16x16_bf16 v[64:67], a[110:111], a[6:7], v[64:67]// 000000008E0C: D3E10040 1D020D6E
	v_mfma_f32_16x16x16_bf16 v[68:71], a[104:105], a[8:9], 0   // 000000008E14: D3E10044 1A021168
	ds_read_b128 v[128:131], v14 offset:13568                  // 000000008E1C: D9FE3500 8000000E
	ds_write_b32 v13, v37 offset:1056                          // 000000008E24: D81A0420 0000250D
	v_mfma_f32_16x16x16_bf16 v[68:71], a[106:107], a[10:11], v[68:71]// 000000008E2C: D3E10044 1D12156A
	buffer_atomic_add_f32 v162, v8, s[32:35], 0 idxen offset:128// 000000008E34: E1342080 8008A208
	v_mfma_f32_16x16x16_bf16 v[68:71], a[108:109], a[12:13], v[68:71]// 000000008E3C: D3E10044 1D12196C
	v_mfma_f32_16x16x16_bf16 v[68:71], a[110:111], a[14:15], v[68:71]// 000000008E44: D3E10044 1D121D6E
	ds_read_b128 v[132:135], v14 offset:15232                  // 000000008E4C: D9FE3B80 8400000E
	ds_write_b32 v13, v38 offset:2176                          // 000000008E54: D81A0880 0000260D
	v_mfma_f32_16x16x16_bf16 v[72:75], a[104:105], a[16:17], 0 // 000000008E5C: D3E10048 1A022168
	v_mfma_f32_16x16x16_bf16 v[72:75], a[106:107], a[18:19], v[72:75]// 000000008E64: D3E10048 1D22256A
	buffer_atomic_add_f32 v163, v9, s[32:35], 0 idxen offset:128// 000000008E6C: E1342080 8008A309
	v_mfma_f32_16x16x16_bf16 v[72:75], a[108:109], a[20:21], v[72:75]// 000000008E74: D3E10048 1D22296C
	ds_read_b128 v[136:139], v14 offset:15744                  // 000000008E7C: D9FE3D80 8800000E
	ds_write_b32 v13, v39 offset:3232                          // 000000008E84: D81A0CA0 0000270D
	v_mfma_f32_16x16x16_bf16 v[72:75], a[110:111], a[22:23], v[72:75]// 000000008E8C: D3E10048 1D222D6E
	s_cmp_lt_i32 s97, 0xc0                                     // 000000008E94: BF04FF61 000000C0
	s_cbranch_scc0 label_1439                                  // 000000008E9C: BF84006D
	s_cmp_le_i32 s97, 64                                       // 000000008EA0: BF05C061
	s_cbranch_scc1 label_13CC                                  // 000000008EA4: BF850007
	s_cmp_le_i32 s97, 0x80                                     // 000000008EA8: BF05FF61 00000080
	s_cbranch_scc1 label_13F0                                  // 000000008EB0: BF85001F
	s_cmp_lt_i32 s97, 0xc0                                     // 000000008EB4: BF04FF61 000000C0
	s_cbranch_scc1 label_1414                                  // 000000008EBC: BF850040
	s_branch label_1439                                        // 000000008EC0: BF820064

0000000000008ec4 <label_13CC>:
	s_mov_b32 s60, 0                                           // 000000008EC4: BEBC0080
	v_and_b32_e32 v32, 15, v0                                  // 000000008EC8: 2640008F
	v_add_u32_e64 v32, v32, s60                                // 000000008ECC: D1340020 00007920
	v_mul_i32_i24_e64 v33, s46, 16                             // 000000008ED4: D1060021 0001202E
	v_add_u32_e32 v32, v32, v33                                // 000000008EDC: 68404320
	v_cmp_lt_u32_e64 s[60:61], v32, s97                        // 000000008EE0: D0C9003C 0000C320
	s_nop 1                                                    // 000000008EE8: BF800001
	v_cndmask_b32_e64 v52, v230, v52, s[60:61]                 // 000000008EEC: D1000034 00F269E6
	v_cndmask_b32_e64 v64, v230, v64, s[60:61]                 // 000000008EF4: D1000040 00F281E6
	v_cndmask_b32_e64 v53, v230, v53, s[60:61]                 // 000000008EFC: D1000035 00F26BE6
	v_cndmask_b32_e64 v65, v230, v65, s[60:61]                 // 000000008F04: D1000041 00F283E6
	v_cndmask_b32_e64 v54, v230, v54, s[60:61]                 // 000000008F0C: D1000036 00F26DE6
	v_cndmask_b32_e64 v66, v230, v66, s[60:61]                 // 000000008F14: D1000042 00F285E6
	v_cndmask_b32_e64 v55, v230, v55, s[60:61]                 // 000000008F1C: D1000037 00F26FE6
	v_cndmask_b32_e64 v67, v230, v67, s[60:61]                 // 000000008F24: D1000043 00F287E6
	s_branch label_140B                                        // 000000008F2C: BF82001B

0000000000008f30 <label_13F0>:
	s_mov_b32 s60, 64                                          // 000000008F30: BEBC00C0
	v_and_b32_e32 v32, 15, v0                                  // 000000008F34: 2640008F
	v_add_u32_e64 v32, v32, s60                                // 000000008F38: D1340020 00007920
	v_mul_i32_i24_e64 v33, s46, 16                             // 000000008F40: D1060021 0001202E
	v_add_u32_e32 v32, v32, v33                                // 000000008F48: 68404320
	v_cmp_lt_u32_e64 s[60:61], v32, s97                        // 000000008F4C: D0C9003C 0000C320
	s_nop 1                                                    // 000000008F54: BF800001
	v_cndmask_b32_e64 v56, v230, v56, s[60:61]                 // 000000008F58: D1000038 00F271E6
	v_cndmask_b32_e64 v68, v230, v68, s[60:61]                 // 000000008F60: D1000044 00F289E6
	v_cndmask_b32_e64 v57, v230, v57, s[60:61]                 // 000000008F68: D1000039 00F273E6
	v_cndmask_b32_e64 v69, v230, v69, s[60:61]                 // 000000008F70: D1000045 00F28BE6
	v_cndmask_b32_e64 v58, v230, v58, s[60:61]                 // 000000008F78: D100003A 00F275E6
	v_cndmask_b32_e64 v70, v230, v70, s[60:61]                 // 000000008F80: D1000046 00F28DE6
	v_cndmask_b32_e64 v59, v230, v59, s[60:61]                 // 000000008F88: D100003B 00F277E6
	v_cndmask_b32_e64 v71, v230, v71, s[60:61]                 // 000000008F90: D1000047 00F28FE6
	s_branch label_1430                                        // 000000008F98: BF820025

0000000000008f9c <label_140B>:
	v_mov_b32_e32 v56, v230                                    // 000000008F9C: 7E7003E6
	v_mov_b32_e32 v68, v230                                    // 000000008FA0: 7E8803E6
	v_mov_b32_e32 v57, v230                                    // 000000008FA4: 7E7203E6
	v_mov_b32_e32 v69, v230                                    // 000000008FA8: 7E8A03E6
	v_mov_b32_e32 v58, v230                                    // 000000008FAC: 7E7403E6
	v_mov_b32_e32 v70, v230                                    // 000000008FB0: 7E8C03E6
	v_mov_b32_e32 v59, v230                                    // 000000008FB4: 7E7603E6
	v_mov_b32_e32 v71, v230                                    // 000000008FB8: 7E8E03E6
	s_branch label_1430                                        // 000000008FBC: BF82001C

0000000000008fc0 <label_1414>:
	s_mov_b32 s60, 0x80                                        // 000000008FC0: BEBC00FF 00000080
	v_and_b32_e32 v32, 15, v0                                  // 000000008FC8: 2640008F
	v_add_u32_e64 v32, v32, s60                                // 000000008FCC: D1340020 00007920
	v_mul_i32_i24_e64 v33, s46, 16                             // 000000008FD4: D1060021 0001202E
	v_add_u32_e32 v32, v32, v33                                // 000000008FDC: 68404320
	v_cmp_lt_u32_e64 s[60:61], v32, s97                        // 000000008FE0: D0C9003C 0000C320
	s_nop 1                                                    // 000000008FE8: BF800001
	v_cndmask_b32_e64 v60, v230, v60, s[60:61]                 // 000000008FEC: D100003C 00F279E6
	v_cndmask_b32_e64 v72, v230, v72, s[60:61]                 // 000000008FF4: D1000048 00F291E6
	v_cndmask_b32_e64 v61, v230, v61, s[60:61]                 // 000000008FFC: D100003D 00F27BE6
	v_cndmask_b32_e64 v73, v230, v73, s[60:61]                 // 000000009004: D1000049 00F293E6
	v_cndmask_b32_e64 v62, v230, v62, s[60:61]                 // 00000000900C: D100003E 00F27DE6
	v_cndmask_b32_e64 v74, v230, v74, s[60:61]                 // 000000009014: D100004A 00F295E6
	v_cndmask_b32_e64 v63, v230, v63, s[60:61]                 // 00000000901C: D100003F 00F27FE6
	v_cndmask_b32_e64 v75, v230, v75, s[60:61]                 // 000000009024: D100004B 00F297E6
	s_branch label_1439                                        // 00000000902C: BF820009

0000000000009030 <label_1430>:
	v_mov_b32_e32 v60, v230                                    // 000000009030: 7E7803E6
	v_mov_b32_e32 v72, v230                                    // 000000009034: 7E9003E6
	v_mov_b32_e32 v61, v230                                    // 000000009038: 7E7A03E6
	v_mov_b32_e32 v73, v230                                    // 00000000903C: 7E9203E6
	v_mov_b32_e32 v62, v230                                    // 000000009040: 7E7C03E6
	v_mov_b32_e32 v74, v230                                    // 000000009044: 7E9403E6
	v_mov_b32_e32 v63, v230                                    // 000000009048: 7E7E03E6
	v_mov_b32_e32 v75, v230                                    // 00000000904C: 7E9603E6
	s_branch label_1439                                        // 000000009050: BF820000

0000000000009054 <label_1439>:
	s_waitcnt lgkmcnt(8)                                       // 000000009054: BF8CC87F
	s_barrier                                                  // 000000009058: BF8A0000
	v_mfma_f32_16x16x16_bf16 v[76:79], v[108:109], a[72:73], 0 // 00000000905C: D3E1004C 1202916C
	v_fma_f32 v52, v52, s57, -v140                             // 000000009064: D1CB0034 86307334
	v_fma_f32 v53, v53, s57, -v141                             // 00000000906C: D1CB0035 86347335
	v_fma_f32 v54, v54, s57, -v142                             // 000000009074: D1CB0036 86387336
	v_fma_f32 v55, v55, s57, -v143                             // 00000000907C: D1CB0037 863C7337
	v_fma_f32 v56, v56, s57, -v140                             // 000000009084: D1CB0038 86307338
	v_fma_f32 v57, v57, s57, -v141                             // 00000000908C: D1CB0039 86347339
	v_mfma_f32_16x16x16_bf16 v[76:79], v[110:111], a[74:75], v[76:79]// 000000009094: D3E1004C 1532956E
	ds_read_b128 a[96:99], v14 offset:4352                     // 00000000909C: DBFE1100 6000000E
	ds_read_b128 a[100:103], v14 offset:4864                   // 0000000090A4: DBFE1300 6400000E
	v_mfma_f32_16x16x16_bf16 v[76:79], v[112:113], a[76:77], v[76:79]// 0000000090AC: D3E1004C 15329970
	v_fma_f32 v58, v58, s57, -v142                             // 0000000090B4: D1CB003A 8638733A
	v_fma_f32 v59, v59, s57, -v143                             // 0000000090BC: D1CB003B 863C733B
	v_fma_f32 v60, v60, s57, -v140                             // 0000000090C4: D1CB003C 8630733C
	v_fma_f32 v61, v61, s57, -v141                             // 0000000090CC: D1CB003D 8634733D
	v_fma_f32 v62, v62, s57, -v142                             // 0000000090D4: D1CB003E 8638733E
	v_fma_f32 v63, v63, s57, -v143                             // 0000000090DC: D1CB003F 863C733F
	v_mfma_f32_16x16x16_bf16 v[76:79], v[114:115], a[78:79], v[76:79]// 0000000090E4: D3E1004C 15329D72
	v_fma_f32 v64, v64, s57, -v144                             // 0000000090EC: D1CB0040 86407340
	v_fma_f32 v65, v65, s57, -v145                             // 0000000090F4: D1CB0041 86447341
	v_fma_f32 v66, v66, s57, -v146                             // 0000000090FC: D1CB0042 86487342
	v_fma_f32 v67, v67, s57, -v147                             // 000000009104: D1CB0043 864C7343
	v_fma_f32 v68, v68, s57, -v144                             // 00000000910C: D1CB0044 86407344
	v_fma_f32 v69, v69, s57, -v145                             // 000000009114: D1CB0045 86447345
	v_mfma_f32_16x16x16_bf16 v[80:83], v[108:109], a[80:81], 0 // 00000000911C: D3E10050 1202A16C
	v_fma_f32 v70, v70, s57, -v146                             // 000000009124: D1CB0046 86487346
	v_fma_f32 v71, v71, s57, -v147                             // 00000000912C: D1CB0047 864C7347
	v_fma_f32 v72, v72, s57, -v144                             // 000000009134: D1CB0048 86407348
	v_fma_f32 v73, v73, s57, -v145                             // 00000000913C: D1CB0049 86447349
	v_fma_f32 v74, v74, s57, -v146                             // 000000009144: D1CB004A 8648734A
	v_fma_f32 v75, v75, s57, -v147                             // 00000000914C: D1CB004B 864C734B
	v_mfma_f32_16x16x16_bf16 v[80:83], v[110:111], a[82:83], v[80:83]// 000000009154: D3E10050 1542A56E
	ds_read_b128 a[104:107], v14 offset:6528                   // 00000000915C: DBFE1980 6800000E
	ds_read_b128 a[108:111], v14 offset:7040                   // 000000009164: DBFE1B80 6C00000E
	v_mfma_f32_16x16x16_bf16 v[80:83], v[112:113], a[84:85], v[80:83]// 00000000916C: D3E10050 1542A970
	v_exp_f32_e32 v52, v52                                     // 000000009174: 7E684134
	v_exp_f32_e32 v53, v53                                     // 000000009178: 7E6A4135
	v_mfma_f32_16x16x16_bf16 v[80:83], v[114:115], a[86:87], v[80:83]// 00000000917C: D3E10050 1542AD72
	v_exp_f32_e32 v54, v54                                     // 000000009184: 7E6C4136
	v_exp_f32_e32 v55, v55                                     // 000000009188: 7E6E4137
	v_mfma_f32_16x16x16_bf16 v[84:87], v[108:109], a[88:89], 0 // 00000000918C: D3E10054 1202B16C
	v_exp_f32_e32 v56, v56                                     // 000000009194: 7E704138
	v_exp_f32_e32 v57, v57                                     // 000000009198: 7E724139
	v_mfma_f32_16x16x16_bf16 v[84:87], v[110:111], a[90:91], v[84:87]// 00000000919C: D3E10054 1552B56E
	ds_read_b64 v[156:157], v21 offset:31232                   // 0000000091A4: D8EC7A00 9C000015
	ds_read_b64 v[158:159], v21 offset:33280                   // 0000000091AC: D8EC8200 9E000015
	v_mfma_f32_16x16x16_bf16 v[84:87], v[112:113], a[92:93], v[84:87]// 0000000091B4: D3E10054 1552B970
	v_exp_f32_e32 v58, v58                                     // 0000000091BC: 7E74413A
	v_exp_f32_e32 v59, v59                                     // 0000000091C0: 7E76413B
	v_mfma_f32_16x16x16_bf16 v[84:87], v[114:115], a[94:95], v[84:87]// 0000000091C4: D3E10054 1552BD72
	ds_read_b64 v[160:161], v21 offset:35328                   // 0000000091CC: D8EC8A00 A0000015
	ds_read_b64 v[162:163], v21 offset:37376                   // 0000000091D4: D8EC9200 A2000015
	v_mfma_f32_16x16x16_bf16 v[88:91], v[116:117], a[72:73], 0 // 0000000091DC: D3E10058 12029174
	v_exp_f32_e32 v60, v60                                     // 0000000091E4: 7E78413C
	v_exp_f32_e32 v61, v61                                     // 0000000091E8: 7E7A413D
	v_mfma_f32_16x16x16_bf16 v[88:91], v[118:119], a[74:75], v[88:91]// 0000000091EC: D3E10058 15629576
	v_exp_f32_e32 v62, v62                                     // 0000000091F4: 7E7C413E
	v_exp_f32_e32 v63, v63                                     // 0000000091F8: 7E7E413F
	v_mfma_f32_16x16x16_bf16 v[88:91], v[120:121], a[76:77], v[88:91]// 0000000091FC: D3E10058 15629978
	v_exp_f32_e32 v64, v64                                     // 000000009204: 7E804140
	v_exp_f32_e32 v65, v65                                     // 000000009208: 7E824141
	v_mfma_f32_16x16x16_bf16 v[88:91], v[122:123], a[78:79], v[88:91]// 00000000920C: D3E10058 15629D7A
	v_exp_f32_e32 v66, v66                                     // 000000009214: 7E844142
	v_exp_f32_e32 v67, v67                                     // 000000009218: 7E864143
	v_mfma_f32_16x16x16_bf16 v[92:95], v[116:117], a[80:81], 0 // 00000000921C: D3E1005C 1202A174
	v_exp_f32_e32 v68, v68                                     // 000000009224: 7E884144
	v_exp_f32_e32 v69, v69                                     // 000000009228: 7E8A4145
	v_mfma_f32_16x16x16_bf16 v[92:95], v[118:119], a[82:83], v[92:95]// 00000000922C: D3E1005C 1572A576
	v_exp_f32_e32 v70, v70                                     // 000000009234: 7E8C4146
	v_exp_f32_e32 v71, v71                                     // 000000009238: 7E8E4147
	v_mfma_f32_16x16x16_bf16 v[92:95], v[120:121], a[84:85], v[92:95]// 00000000923C: D3E1005C 1572A978
	v_exp_f32_e32 v72, v72                                     // 000000009244: 7E904148
	v_exp_f32_e32 v73, v73                                     // 000000009248: 7E924149
	v_mfma_f32_16x16x16_bf16 v[92:95], v[122:123], a[86:87], v[92:95]// 00000000924C: D3E1005C 1572AD7A
	v_exp_f32_e32 v74, v74                                     // 000000009254: 7E94414A
	v_exp_f32_e32 v75, v75                                     // 000000009258: 7E96414B
	v_mfma_f32_16x16x16_bf16 v[96:99], v[116:117], a[88:89], 0 // 00000000925C: D3E10060 1202B174
	v_cmp_u_f32_e64 s[74:75], v52, v52                         // 000000009264: D048004A 00026934
	v_add3_u32 v226, v52, v229, 1                              // 00000000926C: D1FF00E2 0207CB34
	v_cndmask_b32_e64 v32, v226, v228, s[74:75]                // 000000009274: D1000020 012BC9E2
	v_cmp_u_f32_e64 s[74:75], v53, v53                         // 00000000927C: D048004A 00026B35
	v_add3_u32 v226, v53, v229, 1                              // 000000009284: D1FF00E2 0207CB35
	v_cndmask_b32_e64 v33, v226, v228, s[74:75]                // 00000000928C: D1000021 012BC9E2
	v_perm_b32 v164, v33, v32, s64                             // 000000009294: D1ED00A4 01024121
	v_cmp_u_f32_e64 s[74:75], v54, v54                         // 00000000929C: D048004A 00026D36
	v_add3_u32 v226, v54, v229, 1                              // 0000000092A4: D1FF00E2 0207CB36
	v_cndmask_b32_e64 v32, v226, v228, s[74:75]                // 0000000092AC: D1000020 012BC9E2
	v_cmp_u_f32_e64 s[74:75], v55, v55                         // 0000000092B4: D048004A 00026F37
	v_add3_u32 v226, v55, v229, 1                              // 0000000092BC: D1FF00E2 0207CB37
	v_cndmask_b32_e64 v33, v226, v228, s[74:75]                // 0000000092C4: D1000021 012BC9E2
	v_perm_b32 v165, v33, v32, s64                             // 0000000092CC: D1ED00A5 01024121
	v_cmp_u_f32_e64 s[74:75], v56, v56                         // 0000000092D4: D048004A 00027138
	v_add3_u32 v226, v56, v229, 1                              // 0000000092DC: D1FF00E2 0207CB38
	v_cndmask_b32_e64 v32, v226, v228, s[74:75]                // 0000000092E4: D1000020 012BC9E2
	v_cmp_u_f32_e64 s[74:75], v57, v57                         // 0000000092EC: D048004A 00027339
	v_add3_u32 v226, v57, v229, 1                              // 0000000092F4: D1FF00E2 0207CB39
	v_cndmask_b32_e64 v33, v226, v228, s[74:75]                // 0000000092FC: D1000021 012BC9E2
	v_perm_b32 v166, v33, v32, s64                             // 000000009304: D1ED00A6 01024121
	v_cmp_u_f32_e64 s[74:75], v58, v58                         // 00000000930C: D048004A 0002753A
	v_add3_u32 v226, v58, v229, 1                              // 000000009314: D1FF00E2 0207CB3A
	v_cndmask_b32_e64 v32, v226, v228, s[74:75]                // 00000000931C: D1000020 012BC9E2
	v_cmp_u_f32_e64 s[74:75], v59, v59                         // 000000009324: D048004A 0002773B
	v_add3_u32 v226, v59, v229, 1                              // 00000000932C: D1FF00E2 0207CB3B
	v_cndmask_b32_e64 v33, v226, v228, s[74:75]                // 000000009334: D1000021 012BC9E2
	v_perm_b32 v167, v33, v32, s64                             // 00000000933C: D1ED00A7 01024121
	v_cmp_u_f32_e64 s[74:75], v60, v60                         // 000000009344: D048004A 0002793C
	v_add3_u32 v226, v60, v229, 1                              // 00000000934C: D1FF00E2 0207CB3C
	v_cndmask_b32_e64 v32, v226, v228, s[74:75]                // 000000009354: D1000020 012BC9E2
	v_cmp_u_f32_e64 s[74:75], v61, v61                         // 00000000935C: D048004A 00027B3D
	v_add3_u32 v226, v61, v229, 1                              // 000000009364: D1FF00E2 0207CB3D
	v_cndmask_b32_e64 v33, v226, v228, s[74:75]                // 00000000936C: D1000021 012BC9E2
	v_perm_b32 v168, v33, v32, s64                             // 000000009374: D1ED00A8 01024121
	v_cmp_u_f32_e64 s[74:75], v62, v62                         // 00000000937C: D048004A 00027D3E
	v_add3_u32 v226, v62, v229, 1                              // 000000009384: D1FF00E2 0207CB3E
	v_cndmask_b32_e64 v32, v226, v228, s[74:75]                // 00000000938C: D1000020 012BC9E2
	v_cmp_u_f32_e64 s[74:75], v63, v63                         // 000000009394: D048004A 00027F3F
	v_add3_u32 v226, v63, v229, 1                              // 00000000939C: D1FF00E2 0207CB3F
	v_cndmask_b32_e64 v33, v226, v228, s[74:75]                // 0000000093A4: D1000021 012BC9E2
	v_perm_b32 v169, v33, v32, s64                             // 0000000093AC: D1ED00A9 01024121
	v_mfma_f32_16x16x16_bf16 v[96:99], v[118:119], a[90:91], v[96:99]// 0000000093B4: D3E10060 1582B576
	v_cmp_u_f32_e64 s[74:75], v64, v64                         // 0000000093BC: D048004A 00028140
	v_add3_u32 v226, v64, v229, 1                              // 0000000093C4: D1FF00E2 0207CB40
	v_cndmask_b32_e64 v32, v226, v228, s[74:75]                // 0000000093CC: D1000020 012BC9E2
	v_cmp_u_f32_e64 s[74:75], v65, v65                         // 0000000093D4: D048004A 00028341
	v_add3_u32 v226, v65, v229, 1                              // 0000000093DC: D1FF00E2 0207CB41
	v_cndmask_b32_e64 v33, v226, v228, s[74:75]                // 0000000093E4: D1000021 012BC9E2
	v_perm_b32 v170, v33, v32, s64                             // 0000000093EC: D1ED00AA 01024121
	v_cmp_u_f32_e64 s[74:75], v66, v66                         // 0000000093F4: D048004A 00028542
	v_add3_u32 v226, v66, v229, 1                              // 0000000093FC: D1FF00E2 0207CB42
	v_cndmask_b32_e64 v32, v226, v228, s[74:75]                // 000000009404: D1000020 012BC9E2
	v_cmp_u_f32_e64 s[74:75], v67, v67                         // 00000000940C: D048004A 00028743
	v_add3_u32 v226, v67, v229, 1                              // 000000009414: D1FF00E2 0207CB43
	v_cndmask_b32_e64 v33, v226, v228, s[74:75]                // 00000000941C: D1000021 012BC9E2
	v_perm_b32 v171, v33, v32, s64                             // 000000009424: D1ED00AB 01024121
	v_cmp_u_f32_e64 s[74:75], v68, v68                         // 00000000942C: D048004A 00028944
	v_add3_u32 v226, v68, v229, 1                              // 000000009434: D1FF00E2 0207CB44
	v_cndmask_b32_e64 v32, v226, v228, s[74:75]                // 00000000943C: D1000020 012BC9E2
	v_cmp_u_f32_e64 s[74:75], v69, v69                         // 000000009444: D048004A 00028B45
	v_add3_u32 v226, v69, v229, 1                              // 00000000944C: D1FF00E2 0207CB45
	v_cndmask_b32_e64 v33, v226, v228, s[74:75]                // 000000009454: D1000021 012BC9E2
	v_perm_b32 v172, v33, v32, s64                             // 00000000945C: D1ED00AC 01024121
	v_cmp_u_f32_e64 s[74:75], v70, v70                         // 000000009464: D048004A 00028D46
	v_add3_u32 v226, v70, v229, 1                              // 00000000946C: D1FF00E2 0207CB46
	v_cndmask_b32_e64 v32, v226, v228, s[74:75]                // 000000009474: D1000020 012BC9E2
	v_cmp_u_f32_e64 s[74:75], v71, v71                         // 00000000947C: D048004A 00028F47
	v_add3_u32 v226, v71, v229, 1                              // 000000009484: D1FF00E2 0207CB47
	v_cndmask_b32_e64 v33, v226, v228, s[74:75]                // 00000000948C: D1000021 012BC9E2
	v_perm_b32 v173, v33, v32, s64                             // 000000009494: D1ED00AD 01024121
	v_cmp_u_f32_e64 s[74:75], v72, v72                         // 00000000949C: D048004A 00029148
	v_add3_u32 v226, v72, v229, 1                              // 0000000094A4: D1FF00E2 0207CB48
	v_cndmask_b32_e64 v32, v226, v228, s[74:75]                // 0000000094AC: D1000020 012BC9E2
	v_cmp_u_f32_e64 s[74:75], v73, v73                         // 0000000094B4: D048004A 00029349
	v_add3_u32 v226, v73, v229, 1                              // 0000000094BC: D1FF00E2 0207CB49
	v_cndmask_b32_e64 v33, v226, v228, s[74:75]                // 0000000094C4: D1000021 012BC9E2
	v_perm_b32 v174, v33, v32, s64                             // 0000000094CC: D1ED00AE 01024121
	v_cmp_u_f32_e64 s[74:75], v74, v74                         // 0000000094D4: D048004A 0002954A
	v_add3_u32 v226, v74, v229, 1                              // 0000000094DC: D1FF00E2 0207CB4A
	v_cndmask_b32_e64 v32, v226, v228, s[74:75]                // 0000000094E4: D1000020 012BC9E2
	v_cmp_u_f32_e64 s[74:75], v75, v75                         // 0000000094EC: D048004A 0002974B
	v_add3_u32 v226, v75, v229, 1                              // 0000000094F4: D1FF00E2 0207CB4B
	v_cndmask_b32_e64 v33, v226, v228, s[74:75]                // 0000000094FC: D1000021 012BC9E2
	v_perm_b32 v175, v33, v32, s64                             // 000000009504: D1ED00AF 01024121
	v_mfma_f32_16x16x16_bf16 v[96:99], v[120:121], a[92:93], v[96:99]// 00000000950C: D3E10060 1582B978
	v_add_u32_e32 v6, s66, v6                                  // 000000009514: 680C0C42
	v_add_u32_e32 v7, s66, v7                                  // 000000009518: 680E0E42
	v_add_u32_e32 v8, s66, v8                                  // 00000000951C: 68101042
	v_add_u32_e32 v9, s66, v9                                  // 000000009520: 68121242
	v_mfma_f32_16x16x16_bf16 v[96:99], v[122:123], a[94:95], v[96:99]// 000000009524: D3E10060 1582BD7A
	s_waitcnt lgkmcnt(0)                                       // 00000000952C: BF8CC07F
	s_barrier                                                  // 000000009530: BF8A0000
	v_mfma_f32_16x16x16_bf16 v[178:181], v[124:125], v[164:165], v[178:181]// 000000009534: D3E100B2 06CB497C
	v_subrev_f32_dpp v76, v176, v76 quad_perm:[0,0,0,0] row_mask:0xf bank_mask:0xf// 00000000953C: 069898FA FF0000B0
	v_subrev_f32_dpp v77, v176, v77 quad_perm:[1,1,1,1] row_mask:0xf bank_mask:0xf// 000000009544: 069A9AFA FF0055B0
	v_subrev_f32_dpp v78, v176, v78 quad_perm:[2,2,2,2] row_mask:0xf bank_mask:0xf// 00000000954C: 069C9CFA FF00AAB0
	v_subrev_f32_dpp v79, v176, v79 quad_perm:[3,3,3,3] row_mask:0xf bank_mask:0xf// 000000009554: 069E9EFA FF00FFB0
	v_subrev_f32_dpp v80, v176, v80 quad_perm:[0,0,0,0] row_mask:0xf bank_mask:0xf// 00000000955C: 06A0A0FA FF0000B0
	v_subrev_f32_dpp v81, v176, v81 quad_perm:[1,1,1,1] row_mask:0xf bank_mask:0xf// 000000009564: 06A2A2FA FF0055B0
	v_mfma_f32_16x16x16_bf16 v[182:185], v[126:127], v[164:165], v[182:185]// 00000000956C: D3E100B6 06DB497E
	v_subrev_f32_dpp v82, v176, v82 quad_perm:[2,2,2,2] row_mask:0xf bank_mask:0xf// 000000009574: 06A4A4FA FF00AAB0
	v_subrev_f32_dpp v83, v176, v83 quad_perm:[3,3,3,3] row_mask:0xf bank_mask:0xf// 00000000957C: 06A6A6FA FF00FFB0
	v_subrev_f32_dpp v84, v176, v84 quad_perm:[0,0,0,0] row_mask:0xf bank_mask:0xf// 000000009584: 06A8A8FA FF0000B0
	v_subrev_f32_dpp v85, v176, v85 quad_perm:[1,1,1,1] row_mask:0xf bank_mask:0xf// 00000000958C: 06AAAAFA FF0055B0
	v_subrev_f32_dpp v86, v176, v86 quad_perm:[2,2,2,2] row_mask:0xf bank_mask:0xf// 000000009594: 06ACACFA FF00AAB0
	v_subrev_f32_dpp v87, v176, v87 quad_perm:[3,3,3,3] row_mask:0xf bank_mask:0xf// 00000000959C: 06AEAEFA FF00FFB0
	v_mfma_f32_16x16x16_bf16 v[186:189], v[128:129], v[164:165], v[186:189]// 0000000095A4: D3E100BA 06EB4980
	v_mul_f32_e32 v76, v52, v76                                // 0000000095AC: 0A989934
	v_mul_f32_e32 v77, v53, v77                                // 0000000095B0: 0A9A9B35
	v_mul_f32_e32 v78, v54, v78                                // 0000000095B4: 0A9C9D36
	v_mul_f32_e32 v79, v55, v79                                // 0000000095B8: 0A9E9F37
	v_mul_f32_e32 v80, v56, v80                                // 0000000095BC: 0AA0A138
	v_mul_f32_e32 v81, v57, v81                                // 0000000095C0: 0AA2A339
	v_mfma_f32_16x16x16_bf16 v[190:193], v[130:131], v[164:165], v[190:193]// 0000000095C4: D3E100BE 06FB4982
	v_mul_f32_e32 v82, v58, v82                                // 0000000095CC: 0AA4A53A
	v_mul_f32_e32 v83, v59, v83                                // 0000000095D0: 0AA6A73B
	v_mul_f32_e32 v84, v60, v84                                // 0000000095D4: 0AA8A93C
	v_mul_f32_e32 v85, v61, v85                                // 0000000095D8: 0AAAAB3D
	v_mul_f32_e32 v86, v62, v86                                // 0000000095DC: 0AACAD3E
	v_mul_f32_e32 v87, v63, v87                                // 0000000095E0: 0AAEAF3F
	v_mfma_f32_16x16x16_bf16 v[194:197], v[124:125], v[166:167], v[194:197]// 0000000095E4: D3E100C2 070B4D7C
	v_cmp_u_f32_e64 s[74:75], v76, v76                         // 0000000095EC: D048004A 0002994C
	v_add3_u32 v226, v76, v229, 1                              // 0000000095F4: D1FF00E2 0207CB4C
	v_cndmask_b32_e64 v32, v226, v228, s[74:75]                // 0000000095FC: D1000020 012BC9E2
	v_cmp_u_f32_e64 s[74:75], v77, v77                         // 000000009604: D048004A 00029B4D
	v_add3_u32 v226, v77, v229, 1                              // 00000000960C: D1FF00E2 0207CB4D
	v_cndmask_b32_e64 v33, v226, v228, s[74:75]                // 000000009614: D1000021 012BC9E2
	v_perm_b32 v76, v33, v32, s64                              // 00000000961C: D1ED004C 01024121
	v_cmp_u_f32_e64 s[74:75], v78, v78                         // 000000009624: D048004A 00029D4E
	v_add3_u32 v226, v78, v229, 1                              // 00000000962C: D1FF00E2 0207CB4E
	v_cndmask_b32_e64 v32, v226, v228, s[74:75]                // 000000009634: D1000020 012BC9E2
	v_cmp_u_f32_e64 s[74:75], v79, v79                         // 00000000963C: D048004A 00029F4F
	v_add3_u32 v226, v79, v229, 1                              // 000000009644: D1FF00E2 0207CB4F
	v_cndmask_b32_e64 v33, v226, v228, s[74:75]                // 00000000964C: D1000021 012BC9E2
	v_perm_b32 v77, v33, v32, s64                              // 000000009654: D1ED004D 01024121
	v_cmp_u_f32_e64 s[74:75], v80, v80                         // 00000000965C: D048004A 0002A150
	v_add3_u32 v226, v80, v229, 1                              // 000000009664: D1FF00E2 0207CB50
	v_cndmask_b32_e64 v32, v226, v228, s[74:75]                // 00000000966C: D1000020 012BC9E2
	v_cmp_u_f32_e64 s[74:75], v81, v81                         // 000000009674: D048004A 0002A351
	v_add3_u32 v226, v81, v229, 1                              // 00000000967C: D1FF00E2 0207CB51
	v_cndmask_b32_e64 v33, v226, v228, s[74:75]                // 000000009684: D1000021 012BC9E2
	v_perm_b32 v78, v33, v32, s64                              // 00000000968C: D1ED004E 01024121
	v_cmp_u_f32_e64 s[74:75], v82, v82                         // 000000009694: D048004A 0002A552
	v_add3_u32 v226, v82, v229, 1                              // 00000000969C: D1FF00E2 0207CB52
	v_cndmask_b32_e64 v32, v226, v228, s[74:75]                // 0000000096A4: D1000020 012BC9E2
	v_cmp_u_f32_e64 s[74:75], v83, v83                         // 0000000096AC: D048004A 0002A753
	v_add3_u32 v226, v83, v229, 1                              // 0000000096B4: D1FF00E2 0207CB53
	v_cndmask_b32_e64 v33, v226, v228, s[74:75]                // 0000000096BC: D1000021 012BC9E2
	v_perm_b32 v79, v33, v32, s64                              // 0000000096C4: D1ED004F 01024121
	v_cmp_u_f32_e64 s[74:75], v84, v84                         // 0000000096CC: D048004A 0002A954
	v_add3_u32 v226, v84, v229, 1                              // 0000000096D4: D1FF00E2 0207CB54
	v_cndmask_b32_e64 v32, v226, v228, s[74:75]                // 0000000096DC: D1000020 012BC9E2
	v_cmp_u_f32_e64 s[74:75], v85, v85                         // 0000000096E4: D048004A 0002AB55
	v_add3_u32 v226, v85, v229, 1                              // 0000000096EC: D1FF00E2 0207CB55
	v_cndmask_b32_e64 v33, v226, v228, s[74:75]                // 0000000096F4: D1000021 012BC9E2
	v_perm_b32 v80, v33, v32, s64                              // 0000000096FC: D1ED0050 01024121
	v_cmp_u_f32_e64 s[74:75], v86, v86                         // 000000009704: D048004A 0002AD56
	v_add3_u32 v226, v86, v229, 1                              // 00000000970C: D1FF00E2 0207CB56
	v_cndmask_b32_e64 v32, v226, v228, s[74:75]                // 000000009714: D1000020 012BC9E2
	v_cmp_u_f32_e64 s[74:75], v87, v87                         // 00000000971C: D048004A 0002AF57
	v_add3_u32 v226, v87, v229, 1                              // 000000009724: D1FF00E2 0207CB57
	v_cndmask_b32_e64 v33, v226, v228, s[74:75]                // 00000000972C: D1000021 012BC9E2
	v_perm_b32 v81, v33, v32, s64                              // 000000009734: D1ED0051 01024121
	v_mfma_f32_16x16x16_bf16 v[198:201], v[126:127], v[166:167], v[198:201]// 00000000973C: D3E100C6 071B4D7E
	v_mov_b32_dpp v18, v76 quad_perm:[1,0,3,2] row_mask:0xf bank_mask:0xf// 000000009744: 7E2402FA FF00B14C
	v_perm_b32 v52, v18, v76, v17                              // 00000000974C: D1ED0034 04469912
	v_mov_b32_dpp v18, v77 quad_perm:[1,0,3,2] row_mask:0xf bank_mask:0xf// 000000009754: 7E2402FA FF00B14D
	v_perm_b32 v53, v18, v77, v17                              // 00000000975C: D1ED0035 04469B12
	v_mov_b32_dpp v18, v78 quad_perm:[1,0,3,2] row_mask:0xf bank_mask:0xf// 000000009764: 7E2402FA FF00B14E
	v_perm_b32 v54, v18, v78, v17                              // 00000000976C: D1ED0036 04469D12
	v_mfma_f32_16x16x16_bf16 v[202:205], v[128:129], v[166:167], v[202:205]// 000000009774: D3E100CA 072B4D80
	ds_write_b32 v20, v52 offset:17408                         // 00000000977C: D81A4400 00003414
	ds_write_b32 v20, v53 offset:17952                         // 000000009784: D81A4620 00003514
	v_mfma_f32_16x16x16_bf16 v[206:209], v[130:131], v[166:167], v[206:209]// 00000000978C: D3E100CE 073B4D82
	v_mov_b32_dpp v18, v79 quad_perm:[1,0,3,2] row_mask:0xf bank_mask:0xf// 000000009794: 7E2402FA FF00B14F
	v_perm_b32 v55, v18, v79, v17                              // 00000000979C: D1ED0037 04469F12
	v_mov_b32_dpp v18, v80 quad_perm:[1,0,3,2] row_mask:0xf bank_mask:0xf// 0000000097A4: 7E2402FA FF00B150
	v_perm_b32 v56, v18, v80, v17                              // 0000000097AC: D1ED0038 0446A112
	v_mov_b32_dpp v18, v81 quad_perm:[1,0,3,2] row_mask:0xf bank_mask:0xf// 0000000097B4: 7E2402FA FF00B151
	v_perm_b32 v57, v18, v81, v17                              // 0000000097BC: D1ED0039 0446A312
	v_mfma_f32_16x16x16_bf16 v[210:213], v[124:125], v[168:169], v[210:213]// 0000000097C4: D3E100D2 074B517C
	ds_write_b32 v20, v54 offset:19712                         // 0000000097CC: D81A4D00 00003614
	ds_write_b32 v20, v55 offset:20256                         // 0000000097D4: D81A4F20 00003714
	v_mfma_f32_16x16x16_bf16 v[214:217], v[126:127], v[168:169], v[214:217]// 0000000097DC: D3E100D6 075B517E
	v_subrev_f32_dpp v88, v177, v88 quad_perm:[0,0,0,0] row_mask:0xf bank_mask:0xf// 0000000097E4: 06B0B0FA FF0000B1
	v_subrev_f32_dpp v89, v177, v89 quad_perm:[1,1,1,1] row_mask:0xf bank_mask:0xf// 0000000097EC: 06B2B2FA FF0055B1
	v_subrev_f32_dpp v90, v177, v90 quad_perm:[2,2,2,2] row_mask:0xf bank_mask:0xf// 0000000097F4: 06B4B4FA FF00AAB1
	v_subrev_f32_dpp v91, v177, v91 quad_perm:[3,3,3,3] row_mask:0xf bank_mask:0xf// 0000000097FC: 06B6B6FA FF00FFB1
	v_subrev_f32_dpp v92, v177, v92 quad_perm:[0,0,0,0] row_mask:0xf bank_mask:0xf// 000000009804: 06B8B8FA FF0000B1
	v_subrev_f32_dpp v93, v177, v93 quad_perm:[1,1,1,1] row_mask:0xf bank_mask:0xf// 00000000980C: 06BABAFA FF0055B1
	v_mfma_f32_16x16x16_bf16 v[218:221], v[128:129], v[168:169], v[218:221]// 000000009814: D3E100DA 076B5180
	ds_write_b32 v20, v56 offset:22016                         // 00000000981C: D81A5600 00003814
	ds_write_b32 v20, v57 offset:22560                         // 000000009824: D81A5820 00003914
	v_mfma_f32_16x16x16_bf16 v[222:225], v[130:131], v[168:169], v[222:225]// 00000000982C: D3E100DE 077B5182
	v_subrev_f32_dpp v94, v177, v94 quad_perm:[2,2,2,2] row_mask:0xf bank_mask:0xf// 000000009834: 06BCBCFA FF00AAB1
	v_subrev_f32_dpp v95, v177, v95 quad_perm:[3,3,3,3] row_mask:0xf bank_mask:0xf// 00000000983C: 06BEBEFA FF00FFB1
	v_subrev_f32_dpp v96, v177, v96 quad_perm:[0,0,0,0] row_mask:0xf bank_mask:0xf// 000000009844: 06C0C0FA FF0000B1
	v_subrev_f32_dpp v97, v177, v97 quad_perm:[1,1,1,1] row_mask:0xf bank_mask:0xf// 00000000984C: 06C2C2FA FF0055B1
	v_subrev_f32_dpp v98, v177, v98 quad_perm:[2,2,2,2] row_mask:0xf bank_mask:0xf// 000000009854: 06C4C4FA FF00AAB1
	v_subrev_f32_dpp v99, v177, v99 quad_perm:[3,3,3,3] row_mask:0xf bank_mask:0xf// 00000000985C: 06C6C6FA FF00FFB1
	v_mfma_f32_16x16x16_bf16 v[178:181], v[132:133], v[170:171], v[178:181]// 000000009864: D3E100B2 06CB5584
	v_mul_f32_e32 v88, v64, v88                                // 00000000986C: 0AB0B140
	v_mul_f32_e32 v89, v65, v89                                // 000000009870: 0AB2B341
	v_mul_f32_e32 v90, v66, v90                                // 000000009874: 0AB4B542
	v_mul_f32_e32 v91, v67, v91                                // 000000009878: 0AB6B743
	v_mul_f32_e32 v92, v68, v92                                // 00000000987C: 0AB8B944
	v_mul_f32_e32 v93, v69, v93                                // 000000009880: 0ABABB45
	v_mfma_f32_16x16x16_bf16 v[182:185], v[134:135], v[170:171], v[182:185]// 000000009884: D3E100B6 06DB5586
	v_mul_f32_e32 v94, v70, v94                                // 00000000988C: 0ABCBD46
	v_mul_f32_e32 v95, v71, v95                                // 000000009890: 0ABEBF47
	v_mul_f32_e32 v96, v72, v96                                // 000000009894: 0AC0C148
	v_mul_f32_e32 v97, v73, v97                                // 000000009898: 0AC2C349
	v_mul_f32_e32 v98, v74, v98                                // 00000000989C: 0AC4C54A
	v_mul_f32_e32 v99, v75, v99                                // 0000000098A0: 0AC6C74B
	v_mfma_f32_16x16x16_bf16 v[186:189], v[136:137], v[170:171], v[186:189]// 0000000098A4: D3E100BA 06EB5588
	v_cmp_u_f32_e64 s[74:75], v88, v88                         // 0000000098AC: D048004A 0002B158
	v_add3_u32 v226, v88, v229, 1                              // 0000000098B4: D1FF00E2 0207CB58
	v_cndmask_b32_e64 v32, v226, v228, s[74:75]                // 0000000098BC: D1000020 012BC9E2
	v_cmp_u_f32_e64 s[74:75], v89, v89                         // 0000000098C4: D048004A 0002B359
	v_add3_u32 v226, v89, v229, 1                              // 0000000098CC: D1FF00E2 0207CB59
	v_cndmask_b32_e64 v33, v226, v228, s[74:75]                // 0000000098D4: D1000021 012BC9E2
	v_perm_b32 v82, v33, v32, s64                              // 0000000098DC: D1ED0052 01024121
	v_cmp_u_f32_e64 s[74:75], v90, v90                         // 0000000098E4: D048004A 0002B55A
	v_add3_u32 v226, v90, v229, 1                              // 0000000098EC: D1FF00E2 0207CB5A
	v_cndmask_b32_e64 v32, v226, v228, s[74:75]                // 0000000098F4: D1000020 012BC9E2
	v_cmp_u_f32_e64 s[74:75], v91, v91                         // 0000000098FC: D048004A 0002B75B
	v_add3_u32 v226, v91, v229, 1                              // 000000009904: D1FF00E2 0207CB5B
	v_cndmask_b32_e64 v33, v226, v228, s[74:75]                // 00000000990C: D1000021 012BC9E2
	v_perm_b32 v83, v33, v32, s64                              // 000000009914: D1ED0053 01024121
	v_cmp_u_f32_e64 s[74:75], v92, v92                         // 00000000991C: D048004A 0002B95C
	v_add3_u32 v226, v92, v229, 1                              // 000000009924: D1FF00E2 0207CB5C
	v_cndmask_b32_e64 v32, v226, v228, s[74:75]                // 00000000992C: D1000020 012BC9E2
	v_cmp_u_f32_e64 s[74:75], v93, v93                         // 000000009934: D048004A 0002BB5D
	v_add3_u32 v226, v93, v229, 1                              // 00000000993C: D1FF00E2 0207CB5D
	v_cndmask_b32_e64 v33, v226, v228, s[74:75]                // 000000009944: D1000021 012BC9E2
	v_perm_b32 v84, v33, v32, s64                              // 00000000994C: D1ED0054 01024121
	v_cmp_u_f32_e64 s[74:75], v94, v94                         // 000000009954: D048004A 0002BD5E
	v_add3_u32 v226, v94, v229, 1                              // 00000000995C: D1FF00E2 0207CB5E
	v_cndmask_b32_e64 v32, v226, v228, s[74:75]                // 000000009964: D1000020 012BC9E2
	v_cmp_u_f32_e64 s[74:75], v95, v95                         // 00000000996C: D048004A 0002BF5F
	v_add3_u32 v226, v95, v229, 1                              // 000000009974: D1FF00E2 0207CB5F
	v_cndmask_b32_e64 v33, v226, v228, s[74:75]                // 00000000997C: D1000021 012BC9E2
	v_perm_b32 v85, v33, v32, s64                              // 000000009984: D1ED0055 01024121
	v_cmp_u_f32_e64 s[74:75], v96, v96                         // 00000000998C: D048004A 0002C160
	v_add3_u32 v226, v96, v229, 1                              // 000000009994: D1FF00E2 0207CB60
	v_cndmask_b32_e64 v32, v226, v228, s[74:75]                // 00000000999C: D1000020 012BC9E2
	v_cmp_u_f32_e64 s[74:75], v97, v97                         // 0000000099A4: D048004A 0002C361
	v_add3_u32 v226, v97, v229, 1                              // 0000000099AC: D1FF00E2 0207CB61
	v_cndmask_b32_e64 v33, v226, v228, s[74:75]                // 0000000099B4: D1000021 012BC9E2
	v_perm_b32 v86, v33, v32, s64                              // 0000000099BC: D1ED0056 01024121
	v_cmp_u_f32_e64 s[74:75], v98, v98                         // 0000000099C4: D048004A 0002C562
	v_add3_u32 v226, v98, v229, 1                              // 0000000099CC: D1FF00E2 0207CB62
	v_cndmask_b32_e64 v32, v226, v228, s[74:75]                // 0000000099D4: D1000020 012BC9E2
	v_cmp_u_f32_e64 s[74:75], v99, v99                         // 0000000099DC: D048004A 0002C763
	v_add3_u32 v226, v99, v229, 1                              // 0000000099E4: D1FF00E2 0207CB63
	v_cndmask_b32_e64 v33, v226, v228, s[74:75]                // 0000000099EC: D1000021 012BC9E2
	v_perm_b32 v87, v33, v32, s64                              // 0000000099F4: D1ED0057 01024121
	v_mfma_f32_16x16x16_bf16 v[190:193], v[138:139], v[170:171], v[190:193]// 0000000099FC: D3E100BE 06FB558A
	v_mov_b32_dpp v18, v82 quad_perm:[1,0,3,2] row_mask:0xf bank_mask:0xf// 000000009A04: 7E2402FA FF00B152
	v_perm_b32 v58, v18, v82, v17                              // 000000009A0C: D1ED003A 0446A512
	v_mov_b32_dpp v18, v83 quad_perm:[1,0,3,2] row_mask:0xf bank_mask:0xf// 000000009A14: 7E2402FA FF00B153
	v_perm_b32 v59, v18, v83, v17                              // 000000009A1C: D1ED003B 0446A712
	v_mov_b32_dpp v18, v84 quad_perm:[1,0,3,2] row_mask:0xf bank_mask:0xf// 000000009A24: 7E2402FA FF00B154
	v_perm_b32 v60, v18, v84, v17                              // 000000009A2C: D1ED003C 0446A912
	v_mfma_f32_16x16x16_bf16 v[194:197], v[132:133], v[172:173], v[194:197]// 000000009A34: D3E100C2 070B5984
	ds_write_b32 v20, v58 offset:24320                         // 000000009A3C: D81A5F00 00003A14
	ds_write_b32 v20, v59 offset:24864                         // 000000009A44: D81A6120 00003B14
	v_mfma_f32_16x16x16_bf16 v[198:201], v[134:135], v[172:173], v[198:201]// 000000009A4C: D3E100C6 071B5986
	v_mov_b32_dpp v18, v85 quad_perm:[1,0,3,2] row_mask:0xf bank_mask:0xf// 000000009A54: 7E2402FA FF00B155
	v_perm_b32 v61, v18, v85, v17                              // 000000009A5C: D1ED003D 0446AB12
	v_mov_b32_dpp v18, v86 quad_perm:[1,0,3,2] row_mask:0xf bank_mask:0xf// 000000009A64: 7E2402FA FF00B156
	v_perm_b32 v62, v18, v86, v17                              // 000000009A6C: D1ED003E 0446AD12
	v_mov_b32_dpp v18, v87 quad_perm:[1,0,3,2] row_mask:0xf bank_mask:0xf// 000000009A74: 7E2402FA FF00B157
	v_perm_b32 v63, v18, v87, v17                              // 000000009A7C: D1ED003F 0446AF12
	v_mfma_f32_16x16x16_bf16 v[202:205], v[136:137], v[172:173], v[202:205]// 000000009A84: D3E100CA 072B5988
	ds_write_b32 v20, v60 offset:26624                         // 000000009A8C: D81A6800 00003C14
	ds_write_b32 v20, v61 offset:27168                         // 000000009A94: D81A6A20 00003D14
	ds_write_b32 v20, v62 offset:28928                         // 000000009A9C: D81A7100 00003E14
	ds_write_b32 v20, v63 offset:29472                         // 000000009AA4: D81A7320 00003F14
	v_mfma_f32_16x16x16_bf16 v[206:209], v[138:139], v[172:173], v[206:209]// 000000009AAC: D3E100CE 073B598A
	v_mfma_f32_16x16x16_bf16 v[210:213], v[132:133], v[174:175], v[210:213]// 000000009AB4: D3E100D2 074B5D84
	ds_write_b32 v15, v100 offset:4352                         // 000000009ABC: D81A1100 0000640F
	ds_write_b32 v15, v101 offset:5408                         // 000000009AC4: D81A1520 0000650F
	v_mfma_f32_16x16x16_bf16 v[214:217], v[134:135], v[174:175], v[214:217]// 000000009ACC: D3E100D6 075B5D86
	v_mfma_f32_16x16x16_bf16 v[218:221], v[136:137], v[174:175], v[218:221]// 000000009AD4: D3E100DA 076B5D88
	ds_write_b32 v15, v102 offset:6528                         // 000000009ADC: D81A1980 0000660F
	ds_write_b32 v15, v103 offset:7584                         // 000000009AE4: D81A1DA0 0000670F
	v_mfma_f32_16x16x16_bf16 v[222:225], v[138:139], v[174:175], v[222:225]// 000000009AEC: D3E100DE 077B5D8A
	s_nop 0                                                    // 000000009AF4: BF800000
	s_nop 0                                                    // 000000009AF8: BF800000
	s_nop 0                                                    // 000000009AFC: BF800000
	s_barrier                                                  // 000000009B00: BF8A0000
	v_mfma_f32_16x16x16_bf16 a[112:115], a[96:97], v[76:77], a[112:115]// 000000009B04: D3E18070 0DC29960
	ds_read_b32 v140, v23 offset:39424                         // 000000009B0C: D86C9A00 8C000017
	ds_read_b32 v144, v23 offset:39488                         // 000000009B14: D86C9A40 90000017
	ds_read_b32 v176, v23 offset:39680                         // 000000009B1C: D86C9B00 B0000017
	ds_read_b32 v177, v23 offset:39744                         // 000000009B24: D86C9B40 B1000017
	v_mfma_f32_16x16x16_bf16 a[116:119], a[98:99], v[76:77], a[116:119]// 000000009B2C: D3E18074 0DD29962
	buffer_atomic_add_f32 v156, v6, s[32:35], 0 idxen          // 000000009B34: E1342000 80089C06
	v_mfma_f32_16x16x16_bf16 a[120:123], a[100:101], v[76:77], a[120:123]// 000000009B3C: D3E18078 0DE29964
	s_waitcnt lgkmcnt(8)                                       // 000000009B44: BF8CC87F
	s_barrier                                                  // 000000009B48: BF8A0000
	v_mfma_f32_16x16x16_bf16 a[124:127], a[102:103], v[76:77], a[124:127]// 000000009B4C: D3E1807C 0DF29966
	v_mfma_f32_16x16x16_bf16 a[128:131], a[96:97], v[78:79], a[128:131]// 000000009B54: D3E18080 0E029D60
	ds_read_b128 v[52:55], v19 offset:17408                    // 000000009B5C: D9FE4400 34000013
	v_mfma_f32_16x16x16_bf16 a[132:135], a[98:99], v[78:79], a[132:135]// 000000009B64: D3E18084 0E129D62
	v_mfma_f32_16x16x16_bf16 a[136:139], a[100:101], v[78:79], a[136:139]// 000000009B6C: D3E18088 0E229D64
	ds_read_b128 v[56:59], v19 offset:18560                    // 000000009B74: D9FE4880 38000013
	v_mfma_f32_16x16x16_bf16 a[140:143], a[102:103], v[78:79], a[140:143]// 000000009B7C: D3E1808C 0E329D66
	buffer_atomic_add_f32 v157, v7, s[32:35], 0 idxen          // 000000009B84: E1342000 80089D07
	v_mfma_f32_16x16x16_bf16 a[144:147], a[96:97], v[80:81], a[144:147]// 000000009B8C: D3E18090 0E42A160
	ds_read_b128 v[60:63], v19 offset:19712                    // 000000009B94: D9FE4D00 3C000013
	v_mfma_f32_16x16x16_bf16 a[148:151], a[98:99], v[80:81], a[148:151]// 000000009B9C: D3E18094 0E52A162
	v_mfma_f32_16x16x16_bf16 a[152:155], a[100:101], v[80:81], a[152:155]// 000000009BA4: D3E18098 0E62A164
	ds_read_b128 v[64:67], v19 offset:20864                    // 000000009BAC: D9FE5180 40000013
	v_mfma_f32_16x16x16_bf16 a[156:159], a[102:103], v[80:81], a[156:159]// 000000009BB4: D3E1809C 0E72A166
	v_mfma_f32_16x16x16_bf16 a[112:115], a[104:105], v[82:83], a[112:115]// 000000009BBC: D3E18070 0DC2A568
	ds_read_b128 v[68:71], v19 offset:22016                    // 000000009BC4: D9FE5600 44000013
	v_mfma_f32_16x16x16_bf16 a[116:119], a[106:107], v[82:83], a[116:119]// 000000009BCC: D3E18074 0DD2A56A
	buffer_atomic_add_f32 v158, v6, s[32:35], 0 idxen offset:128// 000000009BD4: E1342080 80089E06
	v_mfma_f32_16x16x16_bf16 a[120:123], a[108:109], v[82:83], a[120:123]// 000000009BDC: D3E18078 0DE2A56C
	ds_read_b128 v[72:75], v19 offset:23168                    // 000000009BE4: D9FE5A80 48000013
	v_mfma_f32_16x16x16_bf16 a[124:127], a[110:111], v[82:83], a[124:127]// 000000009BEC: D3E1807C 0DF2A56E
	v_mfma_f32_16x16x16_bf16 a[128:131], a[104:105], v[84:85], a[128:131]// 000000009BF4: D3E18080 0E02A968
	ds_write_b32 v15, v104 offset:13056                        // 000000009BFC: D81A3300 0000680F
	v_mfma_f32_16x16x16_bf16 a[132:135], a[106:107], v[84:85], a[132:135]// 000000009C04: D3E18084 0E12A96A
	v_mfma_f32_16x16x16_bf16 a[136:139], a[108:109], v[84:85], a[136:139]// 000000009C0C: D3E18088 0E22A96C
	ds_write_b32 v15, v105 offset:14112                        // 000000009C14: D81A3720 0000690F
	v_mfma_f32_16x16x16_bf16 a[140:143], a[110:111], v[84:85], a[140:143]// 000000009C1C: D3E1808C 0E32A96E
	buffer_atomic_add_f32 v159, v7, s[32:35], 0 idxen offset:128// 000000009C24: E1342080 80089F07
	v_mfma_f32_16x16x16_bf16 a[144:147], a[104:105], v[86:87], a[144:147]// 000000009C2C: D3E18090 0E42AD68
	ds_write_b32 v15, v106 offset:15232                        // 000000009C34: D81A3B80 00006A0F
	v_mfma_f32_16x16x16_bf16 a[148:151], a[106:107], v[86:87], a[148:151]// 000000009C3C: D3E18094 0E52AD6A
	v_mfma_f32_16x16x16_bf16 a[152:155], a[108:109], v[86:87], a[152:155]// 000000009C44: D3E18098 0E62AD6C
	ds_write_b32 v15, v107 offset:16288                        // 000000009C4C: D81A3FA0 00006B0F
	v_mfma_f32_16x16x16_bf16 a[156:159], a[110:111], v[86:87], a[156:159]// 000000009C54: D3E1809C 0E72AD6E
	s_waitcnt vmcnt(8) lgkmcnt(4)                              // 000000009C5C: BF8C0478
	s_barrier                                                  // 000000009C60: BF8A0000
	v_mfma_f32_16x16x16_bf16 v[148:151], v[52:53], a[24:25], 0 // 000000009C64: D3E10094 12023134
	ds_read_b128 a[96:99], v12                                 // 000000009C6C: DBFE0000 6000000C
	buffer_load_dword v36, v1, s[8:11], 0 idxen                // 000000009C74: E0502000 80022401
	v_mfma_f32_16x16x16_bf16 v[148:151], v[54:55], a[28:29], v[148:151]// 000000009C7C: D3E10094 16523936
	v_mul_f32_e32 v140, s48, v140                              // 000000009C84: 0B191830
	v_mul_f32_e32 v144, s48, v144                              // 000000009C88: 0B212030
	s_nop 0                                                    // 000000009C8C: BF800000
	v_mfma_f32_16x16x16_bf16 v[148:151], v[56:57], a[32:33], v[148:151]// 000000009C90: D3E10094 16524138
	ds_read_b128 a[100:103], v12 offset:512                    // 000000009C98: DBFE0200 6400000C
	buffer_load_dword v37, v2, s[8:11], 0 idxen                // 000000009CA0: E0502000 80022502
	v_mfma_f32_16x16x16_bf16 v[148:151], v[58:59], a[36:37], v[148:151]// 000000009CA8: D3E10094 1652493A
	v_mfma_f32_16x16x16_bf16 v[148:151], v[60:61], a[40:41], v[148:151]// 000000009CB0: D3E10094 1652513C
	ds_read_b128 a[104:107], v12 offset:2176                   // 000000009CB8: DBFE0880 6800000C
	buffer_load_dword v38, v3, s[8:11], 0 idxen                // 000000009CC0: E0502000 80022603
	v_mfma_f32_16x16x16_bf16 v[148:151], v[62:63], a[44:45], v[148:151]// 000000009CC8: D3E10094 1652593E
	v_perm_b32 v100, v41, v40, s63                             // 000000009CD0: D1ED0064 00FE5129
	v_perm_b32 v101, v41, v40, s64                             // 000000009CD8: D1ED0065 01025129
	v_mfma_f32_16x16x16_bf16 v[148:151], v[64:65], a[48:49], v[148:151]// 000000009CE0: D3E10094 16526140
	ds_read_b128 a[108:111], v12 offset:2688                   // 000000009CE8: DBFE0A80 6C00000C
	buffer_load_dword v39, v4, s[8:11], 0 idxen                // 000000009CF0: E0502000 80022704
	v_mfma_f32_16x16x16_bf16 v[148:151], v[66:67], a[52:53], v[148:151]// 000000009CF8: D3E10094 16526942
	v_perm_b32 v102, v43, v42, s63                             // 000000009D00: D1ED0066 00FE552B
	v_perm_b32 v103, v43, v42, s64                             // 000000009D08: D1ED0067 0102552B
	v_mfma_f32_16x16x16_bf16 v[148:151], v[68:69], a[56:57], v[148:151]// 000000009D10: D3E10094 16527144
	ds_read_b128 v[108:111], v12 offset:8704                   // 000000009D18: D9FE2200 6C00000C
	buffer_load_dword v44, v231, s[20:23], 0 idxen             // 000000009D20: E0502000 80052CE7
	v_mfma_f32_16x16x16_bf16 v[148:151], v[70:71], a[60:61], v[148:151]// 000000009D28: D3E10094 16527946
	v_perm_b32 v104, v49, v48, s63                             // 000000009D30: D1ED0068 00FE6131
	v_perm_b32 v105, v49, v48, s64                             // 000000009D38: D1ED0069 01026131
	v_mfma_f32_16x16x16_bf16 v[148:151], v[72:73], a[64:65], v[148:151]// 000000009D40: D3E10094 16528148
	ds_read_b128 v[112:115], v12 offset:9216                   // 000000009D48: D9FE2400 7000000C
	buffer_load_dword v45, v232, s[20:23], 0 idxen             // 000000009D50: E0502000 80052DE8
	v_mfma_f32_16x16x16_bf16 v[148:151], v[74:75], a[68:69], v[148:151]// 000000009D58: D3E10094 1652894A
	v_perm_b32 v106, v51, v50, s63                             // 000000009D60: D1ED006A 00FE6533
	v_perm_b32 v107, v51, v50, s64                             // 000000009D68: D1ED006B 01026533
	v_mfma_f32_16x16x16_bf16 v[152:155], v[52:53], a[26:27], 0 // 000000009D70: D3E10098 12023534
	ds_read_b128 v[116:119], v12 offset:10880                  // 000000009D78: D9FE2A80 7400000C
	buffer_load_dword v46, v233, s[20:23], 0 idxen             // 000000009D80: E0502000 80052EE9
	v_mfma_f32_16x16x16_bf16 v[152:155], v[54:55], a[30:31], v[152:155]// 000000009D88: D3E10098 16623D36
	v_mov_b32_dpp v143, v140 quad_perm:[3,3,3,3] row_mask:0xf bank_mask:0xf// 000000009D90: 7F1E02FA FF00FF8C
	v_mov_b32_dpp v142, v140 quad_perm:[2,2,2,2] row_mask:0xf bank_mask:0xf// 000000009D98: 7F1C02FA FF00AA8C
	v_mov_b32_dpp v141, v140 quad_perm:[1,1,1,1] row_mask:0xf bank_mask:0xf// 000000009DA0: 7F1A02FA FF00558C
	v_mov_b32_dpp v140, v140 quad_perm:[0,0,0,0] row_mask:0xf bank_mask:0xf// 000000009DA8: 7F1802FA FF00008C
	v_mfma_f32_16x16x16_bf16 v[152:155], v[56:57], a[34:35], v[152:155]// 000000009DB0: D3E10098 16624538
	ds_read_b128 v[120:123], v12 offset:11392                  // 000000009DB8: D9FE2C80 7800000C
	buffer_load_dword v47, v234, s[20:23], 0 idxen             // 000000009DC0: E0502000 80052FEA
	v_mfma_f32_16x16x16_bf16 v[152:155], v[58:59], a[38:39], v[152:155]// 000000009DC8: D3E10098 16624D3A
	v_mov_b32_dpp v147, v144 quad_perm:[3,3,3,3] row_mask:0xf bank_mask:0xf// 000000009DD0: 7F2602FA FF00FF90
	v_mov_b32_dpp v146, v144 quad_perm:[2,2,2,2] row_mask:0xf bank_mask:0xf// 000000009DD8: 7F2402FA FF00AA90
	v_mov_b32_dpp v145, v144 quad_perm:[1,1,1,1] row_mask:0xf bank_mask:0xf// 000000009DE0: 7F2202FA FF005590
	v_mov_b32_dpp v144, v144 quad_perm:[0,0,0,0] row_mask:0xf bank_mask:0xf// 000000009DE8: 7F2002FA FF000090
	s_add_u32 s60, 0x80, s59                                   // 000000009DF0: 803C3BFF 00000080
	v_mfma_f32_16x16x16_bf16 v[152:155], v[60:61], a[42:43], v[152:155]// 000000009DF8: D3E10098 1662553C
	buffer_load_dword v11, s[24:27], 0 idxen lds               // 000000009E00: E0512000 8006000B
	v_mfma_f32_16x16x16_bf16 v[152:155], v[62:63], a[46:47], v[152:155]// 000000009E08: D3E10098 16625D3E
	s_cmp_lt_u32 s60, s58                                      // 000000009E10: BF0A3A3C
	s_cselect_b32 s68, s68, 0                                  // 000000009E14: 85448044
	s_cselect_b32 s95, s95, 0                                  // 000000009E18: 855F805F
	s_cselect_b32 s69, s69, 0                                  // 000000009E1C: 85458045
	v_mfma_f32_16x16x16_bf16 v[152:155], v[64:65], a[50:51], v[152:155]// 000000009E20: D3E10098 16626540
	v_add_u32_e32 v1, s68, v1                                  // 000000009E28: 68020244
	v_add_u32_e32 v2, s68, v2                                  // 000000009E2C: 68040444
	v_add_u32_e32 v3, s68, v3                                  // 000000009E30: 68060644
	v_add_u32_e32 v4, s68, v4                                  // 000000009E34: 68080844
	v_mfma_f32_16x16x16_bf16 v[152:155], v[66:67], a[54:55], v[152:155]// 000000009E38: D3E10098 16626D42
	v_add_u32_e32 v231, s95, v231                              // 000000009E40: 69CFCE5F
	v_add_u32_e32 v232, s95, v232                              // 000000009E44: 69D1D05F
	v_add_u32_e32 v233, s95, v233                              // 000000009E48: 69D3D25F
	v_add_u32_e32 v234, s95, v234                              // 000000009E4C: 69D5D45F
	v_mfma_f32_16x16x16_bf16 v[152:155], v[68:69], a[58:59], v[152:155]// 000000009E50: D3E10098 16627544
	s_mov_b32 m0, s77                                          // 000000009E58: BEFC004D
	v_add_u32_e32 v11, s69, v11                                // 000000009E5C: 68161645
	v_mfma_f32_16x16x16_bf16 v[152:155], v[70:71], a[62:63], v[152:155]// 000000009E60: D3E10098 16627D46
	s_cmp_ge_u32 s59, 32                                       // 000000009E68: BF09A03B
	s_cselect_b32 s66, s67, s66                                // 000000009E6C: 85424243
	v_mfma_f32_16x16x16_bf16 v[152:155], v[72:73], a[66:67], v[152:155]// 000000009E70: D3E10098 16628548
	s_addk_i32 s59, 0x20                                       // 000000009E78: B73B0020
	s_nop 0                                                    // 000000009E7C: BF800000
	s_cmp_lt_i32 s59, s58                                      // 000000009E80: BF043A3B
	v_mfma_f32_16x16x16_bf16 v[152:155], v[74:75], a[70:71], v[152:155]// 000000009E84: D3E10098 16628D4A
	s_cbranch_scc0 label_0EF1                                  // 000000009E8C: BF84F73B
	s_branch label_0EF4                                        // 000000009E90: BF82F73D

0000000000009e94 <label_17C9>:
	buffer_atomic_add_f32 v160, v8, s[32:35], 0 idxen          // 000000009E94: E1342000 8008A008
	buffer_atomic_add_f32 v161, v9, s[32:35], 0 idxen          // 000000009E9C: E1342000 8008A109
	buffer_atomic_add_f32 v162, v8, s[32:35], 0 idxen offset:128// 000000009EA4: E1342080 8008A208
	buffer_atomic_add_f32 v163, v9, s[32:35], 0 idxen offset:128// 000000009EAC: E1342080 8008A309
	v_add_u32_e32 v6, s66, v6                                  // 000000009EB4: 680C0C42
	v_add_u32_e32 v7, s66, v7                                  // 000000009EB8: 680E0E42
	v_add_u32_e32 v8, s66, v8                                  // 000000009EBC: 68101042
	v_add_u32_e32 v9, s66, v9                                  // 000000009EC0: 68121242
	v_lshrrev_b32_e32 v32, 5, v0                               // 000000009EC4: 20400085
	v_mul_i32_i24_e32 v27, 0x44, v32                           // 000000009EC8: 0C3640FF 00000044
	v_and_b32_e32 v32, 31, v0                                  // 000000009ED0: 2640009F
	v_mul_i32_i24_e32 v33, 2, v32                              // 000000009ED4: 0C424082
	v_add_u32_e32 v27, v33, v27                                // 000000009ED8: 68363721
	s_mul_i32 s60, s46, 0x220                                  // 000000009EDC: 923CFF2E 00000220
	v_add_u32_e32 v27, s60, v27                                // 000000009EE4: 6836363C
	v_lshlrev_b32_e32 v27, 2, v27                              // 000000009EE8: 24363682
	v_mul_f32_e32 v148, s47, v148                              // 000000009EEC: 0B29282F
	v_mul_f32_e32 v149, s47, v149                              // 000000009EF0: 0B2B2A2F
	v_mul_f32_e32 v150, s47, v150                              // 000000009EF4: 0B2D2C2F
	v_mul_f32_e32 v151, s47, v151                              // 000000009EF8: 0B2F2E2F
	v_mul_f32_e32 v152, s47, v152                              // 000000009EFC: 0B31302F
	v_mul_f32_e32 v153, s47, v153                              // 000000009F00: 0B33322F
	v_mul_f32_e32 v154, s47, v154                              // 000000009F04: 0B35342F
	v_mul_f32_e32 v155, s47, v155                              // 000000009F08: 0B37362F
	ds_write_b64 v22, v[148:149] offset:31232                  // 000000009F0C: D89A7A00 00009416
	ds_write_b64 v22, v[150:151] offset:31744                  // 000000009F14: D89A7C00 00009616
	ds_write_b64 v22, v[152:153] offset:32256                  // 000000009F1C: D89A7E00 00009816
	ds_write_b64 v22, v[154:155] offset:32768                  // 000000009F24: D89A8000 00009A16
	s_waitcnt lgkmcnt(0)                                       // 000000009F2C: BF8CC07F
	s_barrier                                                  // 000000009F30: BF8A0000
	ds_read_b64 v[156:157], v21 offset:31232                   // 000000009F34: D8EC7A00 9C000015
	ds_read_b64 v[158:159], v21 offset:33280                   // 000000009F3C: D8EC8200 9E000015
	ds_read_b64 v[160:161], v21 offset:35328                   // 000000009F44: D8EC8A00 A0000015
	ds_read_b64 v[162:163], v21 offset:37376                   // 000000009F4C: D8EC9200 A2000015
	s_waitcnt lgkmcnt(0)                                       // 000000009F54: BF8CC07F
	s_barrier                                                  // 000000009F58: BF8A0000
	buffer_atomic_add_f32 v156, v6, s[32:35], 0 idxen          // 000000009F5C: E1342000 80089C06
	buffer_atomic_add_f32 v157, v7, s[32:35], 0 idxen          // 000000009F64: E1342000 80089D07
	buffer_atomic_add_f32 v158, v6, s[32:35], 0 idxen offset:128// 000000009F6C: E1342080 80089E06
	buffer_atomic_add_f32 v159, v7, s[32:35], 0 idxen offset:128// 000000009F74: E1342080 80089F07
	buffer_atomic_add_f32 v160, v8, s[32:35], 0 idxen          // 000000009F7C: E1342000 8008A008
	buffer_atomic_add_f32 v161, v9, s[32:35], 0 idxen          // 000000009F84: E1342000 8008A109
	buffer_atomic_add_f32 v162, v8, s[32:35], 0 idxen offset:128// 000000009F8C: E1342080 8008A208
	buffer_atomic_add_f32 v163, v9, s[32:35], 0 idxen offset:128// 000000009F94: E1342080 8008A309
	v_lshrrev_b32_e32 v32, 3, v0                               // 000000009F9C: 20400083
	v_mul_i32_i24_e32 v26, 2, v32                              // 000000009FA0: 0C344082
	v_and_b32_e32 v32, 7, v0                                   // 000000009FA4: 26400087
	v_mul_i32_i24_e32 v33, 0x44, v32                           // 000000009FA8: 0C4240FF 00000044
	v_add_u32_e32 v26, v33, v26                                // 000000009FB0: 68343521
	s_mul_i32 s60, s46, 0x220                                  // 000000009FB4: 923CFF2E 00000220
	v_add_u32_e32 v26, s60, v26                                // 000000009FBC: 6834343C
	v_lshlrev_b32_e32 v26, 2, v26                              // 000000009FC0: 24343482
	v_accvgpr_read_b32 v34, a112                               // 000000009FC4: D3D84022 18000170
	v_accvgpr_read_b32 v35, a113                               // 000000009FCC: D3D84023 18000171
	v_mul_f32_e32 v34, s47, v34                                // 000000009FD4: 0A44442F
	v_mul_f32_e32 v35, s47, v35                                // 000000009FD8: 0A46462F
	v_cmp_u_f32_e64 s[74:75], v34, v34                         // 000000009FDC: D048004A 00024522
	v_bfe_u32 v226, v34, 16, 1                                 // 000000009FE4: D1C800E2 02052122
	v_add3_u32 v226, v34, v226, v229                           // 000000009FEC: D1FF00E2 0797C522
	v_cndmask_b32_e64 v32, v226, v228, s[74:75]                // 000000009FF4: D1000020 012BC9E2
	v_lshrrev_b32_e32 v32, 16, v32                             // 000000009FFC: 20404090
	v_cmp_u_f32_e64 s[74:75], v35, v35                         // 00000000A000: D048004A 00024723
	v_bfe_u32 v226, v35, 16, 1                                 // 00000000A008: D1C800E2 02052123
	v_add3_u32 v226, v35, v226, v229                           // 00000000A010: D1FF00E2 0797C523
	v_cndmask_b32_e64 v33, v226, v228, s[74:75]                // 00000000A018: D1000021 012BC9E2
	v_and_or_b32 v52, v33, v227, v32                           // 00000000A020: D2010034 0483C721
	v_accvgpr_read_b32 v34, a114                               // 00000000A028: D3D84022 18000172
	v_accvgpr_read_b32 v35, a115                               // 00000000A030: D3D84023 18000173
	v_mul_f32_e32 v34, s47, v34                                // 00000000A038: 0A44442F
	v_mul_f32_e32 v35, s47, v35                                // 00000000A03C: 0A46462F
	v_cmp_u_f32_e64 s[74:75], v34, v34                         // 00000000A040: D048004A 00024522
	v_bfe_u32 v226, v34, 16, 1                                 // 00000000A048: D1C800E2 02052122
	v_add3_u32 v226, v34, v226, v229                           // 00000000A050: D1FF00E2 0797C522
	v_cndmask_b32_e64 v32, v226, v228, s[74:75]                // 00000000A058: D1000020 012BC9E2
	v_lshrrev_b32_e32 v32, 16, v32                             // 00000000A060: 20404090
	v_cmp_u_f32_e64 s[74:75], v35, v35                         // 00000000A064: D048004A 00024723
	v_bfe_u32 v226, v35, 16, 1                                 // 00000000A06C: D1C800E2 02052123
	v_add3_u32 v226, v35, v226, v229                           // 00000000A074: D1FF00E2 0797C523
	v_cndmask_b32_e64 v33, v226, v228, s[74:75]                // 00000000A07C: D1000021 012BC9E2
	v_and_or_b32 v53, v33, v227, v32                           // 00000000A084: D2010035 0483C721
	v_accvgpr_read_b32 v34, a116                               // 00000000A08C: D3D84022 18000174
	v_accvgpr_read_b32 v35, a117                               // 00000000A094: D3D84023 18000175
	v_mul_f32_e32 v34, s47, v34                                // 00000000A09C: 0A44442F
	v_mul_f32_e32 v35, s47, v35                                // 00000000A0A0: 0A46462F
	v_cmp_u_f32_e64 s[74:75], v34, v34                         // 00000000A0A4: D048004A 00024522
	v_bfe_u32 v226, v34, 16, 1                                 // 00000000A0AC: D1C800E2 02052122
	v_add3_u32 v226, v34, v226, v229                           // 00000000A0B4: D1FF00E2 0797C522
	v_cndmask_b32_e64 v32, v226, v228, s[74:75]                // 00000000A0BC: D1000020 012BC9E2
	v_lshrrev_b32_e32 v32, 16, v32                             // 00000000A0C4: 20404090
	v_cmp_u_f32_e64 s[74:75], v35, v35                         // 00000000A0C8: D048004A 00024723
	v_bfe_u32 v226, v35, 16, 1                                 // 00000000A0D0: D1C800E2 02052123
	v_add3_u32 v226, v35, v226, v229                           // 00000000A0D8: D1FF00E2 0797C523
	v_cndmask_b32_e64 v33, v226, v228, s[74:75]                // 00000000A0E0: D1000021 012BC9E2
	v_and_or_b32 v54, v33, v227, v32                           // 00000000A0E8: D2010036 0483C721
	v_accvgpr_read_b32 v34, a118                               // 00000000A0F0: D3D84022 18000176
	v_accvgpr_read_b32 v35, a119                               // 00000000A0F8: D3D84023 18000177
	v_mul_f32_e32 v34, s47, v34                                // 00000000A100: 0A44442F
	v_mul_f32_e32 v35, s47, v35                                // 00000000A104: 0A46462F
	v_cmp_u_f32_e64 s[74:75], v34, v34                         // 00000000A108: D048004A 00024522
	v_bfe_u32 v226, v34, 16, 1                                 // 00000000A110: D1C800E2 02052122
	v_add3_u32 v226, v34, v226, v229                           // 00000000A118: D1FF00E2 0797C522
	v_cndmask_b32_e64 v32, v226, v228, s[74:75]                // 00000000A120: D1000020 012BC9E2
	v_lshrrev_b32_e32 v32, 16, v32                             // 00000000A128: 20404090
	v_cmp_u_f32_e64 s[74:75], v35, v35                         // 00000000A12C: D048004A 00024723
	v_bfe_u32 v226, v35, 16, 1                                 // 00000000A134: D1C800E2 02052123
	v_add3_u32 v226, v35, v226, v229                           // 00000000A13C: D1FF00E2 0797C523
	v_cndmask_b32_e64 v33, v226, v228, s[74:75]                // 00000000A144: D1000021 012BC9E2
	v_and_or_b32 v55, v33, v227, v32                           // 00000000A14C: D2010037 0483C721
	v_accvgpr_read_b32 v34, a120                               // 00000000A154: D3D84022 18000178
	v_accvgpr_read_b32 v35, a121                               // 00000000A15C: D3D84023 18000179
	v_mul_f32_e32 v34, s47, v34                                // 00000000A164: 0A44442F
	v_mul_f32_e32 v35, s47, v35                                // 00000000A168: 0A46462F
	v_cmp_u_f32_e64 s[74:75], v34, v34                         // 00000000A16C: D048004A 00024522
	v_bfe_u32 v226, v34, 16, 1                                 // 00000000A174: D1C800E2 02052122
	v_add3_u32 v226, v34, v226, v229                           // 00000000A17C: D1FF00E2 0797C522
	v_cndmask_b32_e64 v32, v226, v228, s[74:75]                // 00000000A184: D1000020 012BC9E2
	v_lshrrev_b32_e32 v32, 16, v32                             // 00000000A18C: 20404090
	v_cmp_u_f32_e64 s[74:75], v35, v35                         // 00000000A190: D048004A 00024723
	v_bfe_u32 v226, v35, 16, 1                                 // 00000000A198: D1C800E2 02052123
	v_add3_u32 v226, v35, v226, v229                           // 00000000A1A0: D1FF00E2 0797C523
	v_cndmask_b32_e64 v33, v226, v228, s[74:75]                // 00000000A1A8: D1000021 012BC9E2
	v_and_or_b32 v56, v33, v227, v32                           // 00000000A1B0: D2010038 0483C721
	v_accvgpr_read_b32 v34, a122                               // 00000000A1B8: D3D84022 1800017A
	v_accvgpr_read_b32 v35, a123                               // 00000000A1C0: D3D84023 1800017B
	v_mul_f32_e32 v34, s47, v34                                // 00000000A1C8: 0A44442F
	v_mul_f32_e32 v35, s47, v35                                // 00000000A1CC: 0A46462F
	v_cmp_u_f32_e64 s[74:75], v34, v34                         // 00000000A1D0: D048004A 00024522
	v_bfe_u32 v226, v34, 16, 1                                 // 00000000A1D8: D1C800E2 02052122
	v_add3_u32 v226, v34, v226, v229                           // 00000000A1E0: D1FF00E2 0797C522
	v_cndmask_b32_e64 v32, v226, v228, s[74:75]                // 00000000A1E8: D1000020 012BC9E2
	v_lshrrev_b32_e32 v32, 16, v32                             // 00000000A1F0: 20404090
	v_cmp_u_f32_e64 s[74:75], v35, v35                         // 00000000A1F4: D048004A 00024723
	v_bfe_u32 v226, v35, 16, 1                                 // 00000000A1FC: D1C800E2 02052123
	v_add3_u32 v226, v35, v226, v229                           // 00000000A204: D1FF00E2 0797C523
	v_cndmask_b32_e64 v33, v226, v228, s[74:75]                // 00000000A20C: D1000021 012BC9E2
	v_and_or_b32 v57, v33, v227, v32                           // 00000000A214: D2010039 0483C721
	v_accvgpr_read_b32 v34, a124                               // 00000000A21C: D3D84022 1800017C
	v_accvgpr_read_b32 v35, a125                               // 00000000A224: D3D84023 1800017D
	v_mul_f32_e32 v34, s47, v34                                // 00000000A22C: 0A44442F
	v_mul_f32_e32 v35, s47, v35                                // 00000000A230: 0A46462F
	v_cmp_u_f32_e64 s[74:75], v34, v34                         // 00000000A234: D048004A 00024522
	v_bfe_u32 v226, v34, 16, 1                                 // 00000000A23C: D1C800E2 02052122
	v_add3_u32 v226, v34, v226, v229                           // 00000000A244: D1FF00E2 0797C522
	v_cndmask_b32_e64 v32, v226, v228, s[74:75]                // 00000000A24C: D1000020 012BC9E2
	v_lshrrev_b32_e32 v32, 16, v32                             // 00000000A254: 20404090
	v_cmp_u_f32_e64 s[74:75], v35, v35                         // 00000000A258: D048004A 00024723
	v_bfe_u32 v226, v35, 16, 1                                 // 00000000A260: D1C800E2 02052123
	v_add3_u32 v226, v35, v226, v229                           // 00000000A268: D1FF00E2 0797C523
	v_cndmask_b32_e64 v33, v226, v228, s[74:75]                // 00000000A270: D1000021 012BC9E2
	v_and_or_b32 v58, v33, v227, v32                           // 00000000A278: D201003A 0483C721
	v_accvgpr_read_b32 v34, a126                               // 00000000A280: D3D84022 1800017E
	v_accvgpr_read_b32 v35, a127                               // 00000000A288: D3D84023 1800017F
	v_mul_f32_e32 v34, s47, v34                                // 00000000A290: 0A44442F
	v_mul_f32_e32 v35, s47, v35                                // 00000000A294: 0A46462F
	v_cmp_u_f32_e64 s[74:75], v34, v34                         // 00000000A298: D048004A 00024522
	v_bfe_u32 v226, v34, 16, 1                                 // 00000000A2A0: D1C800E2 02052122
	v_add3_u32 v226, v34, v226, v229                           // 00000000A2A8: D1FF00E2 0797C522
	v_cndmask_b32_e64 v32, v226, v228, s[74:75]                // 00000000A2B0: D1000020 012BC9E2
	v_lshrrev_b32_e32 v32, 16, v32                             // 00000000A2B8: 20404090
	v_cmp_u_f32_e64 s[74:75], v35, v35                         // 00000000A2BC: D048004A 00024723
	v_bfe_u32 v226, v35, 16, 1                                 // 00000000A2C4: D1C800E2 02052123
	v_add3_u32 v226, v35, v226, v229                           // 00000000A2CC: D1FF00E2 0797C523
	v_cndmask_b32_e64 v33, v226, v228, s[74:75]                // 00000000A2D4: D1000021 012BC9E2
	v_and_or_b32 v59, v33, v227, v32                           // 00000000A2DC: D201003B 0483C721
	ds_write_b64 v27, v[52:53]                                 // 00000000A2E4: D89A0000 0000341B
	ds_write_b64 v27, v[54:55] offset:544                      // 00000000A2EC: D89A0220 0000361B
	ds_write_b64 v27, v[56:57] offset:1088                     // 00000000A2F4: D89A0440 0000381B
	ds_write_b64 v27, v[58:59] offset:1632                     // 00000000A2FC: D89A0660 00003A1B
	s_waitcnt lgkmcnt(0)                                       // 00000000A304: BF8CC07F
	s_barrier                                                  // 00000000A308: BF8A0000
	ds_read_b64 v[52:53], v26                                  // 00000000A30C: D8EC0000 3400001A
	ds_read_b64 v[54:55], v26 offset:128                       // 00000000A314: D8EC0080 3600001A
	ds_read_b64 v[56:57], v26 offset:64                        // 00000000A31C: D8EC0040 3800001A
	ds_read_b64 v[58:59], v26 offset:192                       // 00000000A324: D8EC00C0 3A00001A
	s_waitcnt lgkmcnt(0)                                       // 00000000A32C: BF8CC07F
	s_mov_b32 s70, s52                                         // 00000000A330: BEC60034
	buffer_store_dwordx4 v[52:55], v5, s[36:39], 0 idxen       // 00000000A334: E07C2000 80093405
	s_mul_i32 s60, 2, s70                                      // 00000000A33C: 923C4682
	v_add_u32_e32 v5, s60, v5                                  // 00000000A340: 680A0A3C
	buffer_store_dwordx4 v[56:59], v5, s[36:39], 0 idxen       // 00000000A344: E07C2000 80093805
	s_mul_i32 s60, 2, s70                                      // 00000000A34C: 923C4682
	v_add_u32_e32 v5, s60, v5                                  // 00000000A350: 680A0A3C
	s_mul_i32 s60, 12, s70                                     // 00000000A354: 923C468C
	v_add_u32_e32 v5, s60, v5                                  // 00000000A358: 680A0A3C
	s_barrier                                                  // 00000000A35C: BF8A0000
	s_cmp_ge_i32 1, s73                                        // 00000000A360: BF034981
	s_cbranch_scc1 label_1AD0                                  // 00000000A364: BF8501D2
	v_accvgpr_read_b32 v34, a128                               // 00000000A368: D3D84022 18000180
	v_accvgpr_read_b32 v35, a129                               // 00000000A370: D3D84023 18000181
	v_mul_f32_e32 v34, s47, v34                                // 00000000A378: 0A44442F
	v_mul_f32_e32 v35, s47, v35                                // 00000000A37C: 0A46462F
	v_cmp_u_f32_e64 s[74:75], v34, v34                         // 00000000A380: D048004A 00024522
	v_bfe_u32 v226, v34, 16, 1                                 // 00000000A388: D1C800E2 02052122
	v_add3_u32 v226, v34, v226, v229                           // 00000000A390: D1FF00E2 0797C522
	v_cndmask_b32_e64 v32, v226, v228, s[74:75]                // 00000000A398: D1000020 012BC9E2
	v_lshrrev_b32_e32 v32, 16, v32                             // 00000000A3A0: 20404090
	v_cmp_u_f32_e64 s[74:75], v35, v35                         // 00000000A3A4: D048004A 00024723
	v_bfe_u32 v226, v35, 16, 1                                 // 00000000A3AC: D1C800E2 02052123
	v_add3_u32 v226, v35, v226, v229                           // 00000000A3B4: D1FF00E2 0797C523
	v_cndmask_b32_e64 v33, v226, v228, s[74:75]                // 00000000A3BC: D1000021 012BC9E2
	v_and_or_b32 v60, v33, v227, v32                           // 00000000A3C4: D201003C 0483C721
	v_accvgpr_read_b32 v34, a130                               // 00000000A3CC: D3D84022 18000182
	v_accvgpr_read_b32 v35, a131                               // 00000000A3D4: D3D84023 18000183
	v_mul_f32_e32 v34, s47, v34                                // 00000000A3DC: 0A44442F
	v_mul_f32_e32 v35, s47, v35                                // 00000000A3E0: 0A46462F
	v_cmp_u_f32_e64 s[74:75], v34, v34                         // 00000000A3E4: D048004A 00024522
	v_bfe_u32 v226, v34, 16, 1                                 // 00000000A3EC: D1C800E2 02052122
	v_add3_u32 v226, v34, v226, v229                           // 00000000A3F4: D1FF00E2 0797C522
	v_cndmask_b32_e64 v32, v226, v228, s[74:75]                // 00000000A3FC: D1000020 012BC9E2
	v_lshrrev_b32_e32 v32, 16, v32                             // 00000000A404: 20404090
	v_cmp_u_f32_e64 s[74:75], v35, v35                         // 00000000A408: D048004A 00024723
	v_bfe_u32 v226, v35, 16, 1                                 // 00000000A410: D1C800E2 02052123
	v_add3_u32 v226, v35, v226, v229                           // 00000000A418: D1FF00E2 0797C523
	v_cndmask_b32_e64 v33, v226, v228, s[74:75]                // 00000000A420: D1000021 012BC9E2
	v_and_or_b32 v61, v33, v227, v32                           // 00000000A428: D201003D 0483C721
	v_accvgpr_read_b32 v34, a132                               // 00000000A430: D3D84022 18000184
	v_accvgpr_read_b32 v35, a133                               // 00000000A438: D3D84023 18000185
	v_mul_f32_e32 v34, s47, v34                                // 00000000A440: 0A44442F
	v_mul_f32_e32 v35, s47, v35                                // 00000000A444: 0A46462F
	v_cmp_u_f32_e64 s[74:75], v34, v34                         // 00000000A448: D048004A 00024522
	v_bfe_u32 v226, v34, 16, 1                                 // 00000000A450: D1C800E2 02052122
	v_add3_u32 v226, v34, v226, v229                           // 00000000A458: D1FF00E2 0797C522
	v_cndmask_b32_e64 v32, v226, v228, s[74:75]                // 00000000A460: D1000020 012BC9E2
	v_lshrrev_b32_e32 v32, 16, v32                             // 00000000A468: 20404090
	v_cmp_u_f32_e64 s[74:75], v35, v35                         // 00000000A46C: D048004A 00024723
	v_bfe_u32 v226, v35, 16, 1                                 // 00000000A474: D1C800E2 02052123
	v_add3_u32 v226, v35, v226, v229                           // 00000000A47C: D1FF00E2 0797C523
	v_cndmask_b32_e64 v33, v226, v228, s[74:75]                // 00000000A484: D1000021 012BC9E2
	v_and_or_b32 v62, v33, v227, v32                           // 00000000A48C: D201003E 0483C721
	v_accvgpr_read_b32 v34, a134                               // 00000000A494: D3D84022 18000186
	v_accvgpr_read_b32 v35, a135                               // 00000000A49C: D3D84023 18000187
	v_mul_f32_e32 v34, s47, v34                                // 00000000A4A4: 0A44442F
	v_mul_f32_e32 v35, s47, v35                                // 00000000A4A8: 0A46462F
	v_cmp_u_f32_e64 s[74:75], v34, v34                         // 00000000A4AC: D048004A 00024522
	v_bfe_u32 v226, v34, 16, 1                                 // 00000000A4B4: D1C800E2 02052122
	v_add3_u32 v226, v34, v226, v229                           // 00000000A4BC: D1FF00E2 0797C522
	v_cndmask_b32_e64 v32, v226, v228, s[74:75]                // 00000000A4C4: D1000020 012BC9E2
	v_lshrrev_b32_e32 v32, 16, v32                             // 00000000A4CC: 20404090
	v_cmp_u_f32_e64 s[74:75], v35, v35                         // 00000000A4D0: D048004A 00024723
	v_bfe_u32 v226, v35, 16, 1                                 // 00000000A4D8: D1C800E2 02052123
	v_add3_u32 v226, v35, v226, v229                           // 00000000A4E0: D1FF00E2 0797C523
	v_cndmask_b32_e64 v33, v226, v228, s[74:75]                // 00000000A4E8: D1000021 012BC9E2
	v_and_or_b32 v63, v33, v227, v32                           // 00000000A4F0: D201003F 0483C721
	v_accvgpr_read_b32 v34, a136                               // 00000000A4F8: D3D84022 18000188
	v_accvgpr_read_b32 v35, a137                               // 00000000A500: D3D84023 18000189
	v_mul_f32_e32 v34, s47, v34                                // 00000000A508: 0A44442F
	v_mul_f32_e32 v35, s47, v35                                // 00000000A50C: 0A46462F
	v_cmp_u_f32_e64 s[74:75], v34, v34                         // 00000000A510: D048004A 00024522
	v_bfe_u32 v226, v34, 16, 1                                 // 00000000A518: D1C800E2 02052122
	v_add3_u32 v226, v34, v226, v229                           // 00000000A520: D1FF00E2 0797C522
	v_cndmask_b32_e64 v32, v226, v228, s[74:75]                // 00000000A528: D1000020 012BC9E2
	v_lshrrev_b32_e32 v32, 16, v32                             // 00000000A530: 20404090
	v_cmp_u_f32_e64 s[74:75], v35, v35                         // 00000000A534: D048004A 00024723
	v_bfe_u32 v226, v35, 16, 1                                 // 00000000A53C: D1C800E2 02052123
	v_add3_u32 v226, v35, v226, v229                           // 00000000A544: D1FF00E2 0797C523
	v_cndmask_b32_e64 v33, v226, v228, s[74:75]                // 00000000A54C: D1000021 012BC9E2
	v_and_or_b32 v64, v33, v227, v32                           // 00000000A554: D2010040 0483C721
	v_accvgpr_read_b32 v34, a138                               // 00000000A55C: D3D84022 1800018A
	v_accvgpr_read_b32 v35, a139                               // 00000000A564: D3D84023 1800018B
	v_mul_f32_e32 v34, s47, v34                                // 00000000A56C: 0A44442F
	v_mul_f32_e32 v35, s47, v35                                // 00000000A570: 0A46462F
	v_cmp_u_f32_e64 s[74:75], v34, v34                         // 00000000A574: D048004A 00024522
	v_bfe_u32 v226, v34, 16, 1                                 // 00000000A57C: D1C800E2 02052122
	v_add3_u32 v226, v34, v226, v229                           // 00000000A584: D1FF00E2 0797C522
	v_cndmask_b32_e64 v32, v226, v228, s[74:75]                // 00000000A58C: D1000020 012BC9E2
	v_lshrrev_b32_e32 v32, 16, v32                             // 00000000A594: 20404090
	v_cmp_u_f32_e64 s[74:75], v35, v35                         // 00000000A598: D048004A 00024723
	v_bfe_u32 v226, v35, 16, 1                                 // 00000000A5A0: D1C800E2 02052123
	v_add3_u32 v226, v35, v226, v229                           // 00000000A5A8: D1FF00E2 0797C523
	v_cndmask_b32_e64 v33, v226, v228, s[74:75]                // 00000000A5B0: D1000021 012BC9E2
	v_and_or_b32 v65, v33, v227, v32                           // 00000000A5B8: D2010041 0483C721
	v_accvgpr_read_b32 v34, a140                               // 00000000A5C0: D3D84022 1800018C
	v_accvgpr_read_b32 v35, a141                               // 00000000A5C8: D3D84023 1800018D
	v_mul_f32_e32 v34, s47, v34                                // 00000000A5D0: 0A44442F
	v_mul_f32_e32 v35, s47, v35                                // 00000000A5D4: 0A46462F
	v_cmp_u_f32_e64 s[74:75], v34, v34                         // 00000000A5D8: D048004A 00024522
	v_bfe_u32 v226, v34, 16, 1                                 // 00000000A5E0: D1C800E2 02052122
	v_add3_u32 v226, v34, v226, v229                           // 00000000A5E8: D1FF00E2 0797C522
	v_cndmask_b32_e64 v32, v226, v228, s[74:75]                // 00000000A5F0: D1000020 012BC9E2
	v_lshrrev_b32_e32 v32, 16, v32                             // 00000000A5F8: 20404090
	v_cmp_u_f32_e64 s[74:75], v35, v35                         // 00000000A5FC: D048004A 00024723
	v_bfe_u32 v226, v35, 16, 1                                 // 00000000A604: D1C800E2 02052123
	v_add3_u32 v226, v35, v226, v229                           // 00000000A60C: D1FF00E2 0797C523
	v_cndmask_b32_e64 v33, v226, v228, s[74:75]                // 00000000A614: D1000021 012BC9E2
	v_and_or_b32 v66, v33, v227, v32                           // 00000000A61C: D2010042 0483C721
	v_accvgpr_read_b32 v34, a142                               // 00000000A624: D3D84022 1800018E
	v_accvgpr_read_b32 v35, a143                               // 00000000A62C: D3D84023 1800018F
	v_mul_f32_e32 v34, s47, v34                                // 00000000A634: 0A44442F
	v_mul_f32_e32 v35, s47, v35                                // 00000000A638: 0A46462F
	v_cmp_u_f32_e64 s[74:75], v34, v34                         // 00000000A63C: D048004A 00024522
	v_bfe_u32 v226, v34, 16, 1                                 // 00000000A644: D1C800E2 02052122
	v_add3_u32 v226, v34, v226, v229                           // 00000000A64C: D1FF00E2 0797C522
	v_cndmask_b32_e64 v32, v226, v228, s[74:75]                // 00000000A654: D1000020 012BC9E2
	v_lshrrev_b32_e32 v32, 16, v32                             // 00000000A65C: 20404090
	v_cmp_u_f32_e64 s[74:75], v35, v35                         // 00000000A660: D048004A 00024723
	v_bfe_u32 v226, v35, 16, 1                                 // 00000000A668: D1C800E2 02052123
	v_add3_u32 v226, v35, v226, v229                           // 00000000A670: D1FF00E2 0797C523
	v_cndmask_b32_e64 v33, v226, v228, s[74:75]                // 00000000A678: D1000021 012BC9E2
	v_and_or_b32 v67, v33, v227, v32                           // 00000000A680: D2010043 0483C721
	ds_write_b64 v27, v[60:61] offset:8704                     // 00000000A688: D89A2200 00003C1B
	ds_write_b64 v27, v[62:63] offset:9248                     // 00000000A690: D89A2420 00003E1B
	ds_write_b64 v27, v[64:65] offset:9792                     // 00000000A698: D89A2640 0000401B
	ds_write_b64 v27, v[66:67] offset:10336                    // 00000000A6A0: D89A2860 0000421B
	s_waitcnt lgkmcnt(0)                                       // 00000000A6A8: BF8CC07F
	s_barrier                                                  // 00000000A6AC: BF8A0000
	ds_read_b64 v[60:61], v26 offset:8704                      // 00000000A6B0: D8EC2200 3C00001A
	ds_read_b64 v[62:63], v26 offset:8832                      // 00000000A6B8: D8EC2280 3E00001A
	ds_read_b64 v[64:65], v26 offset:8768                      // 00000000A6C0: D8EC2240 4000001A
	ds_read_b64 v[66:67], v26 offset:8896                      // 00000000A6C8: D8EC22C0 4200001A
	s_waitcnt lgkmcnt(0)                                       // 00000000A6D0: BF8CC07F
	s_mov_b32 s70, s52                                         // 00000000A6D4: BEC60034
	buffer_store_dwordx4 v[60:63], v5, s[36:39], 0 idxen       // 00000000A6D8: E07C2000 80093C05
	s_mul_i32 s60, 2, s70                                      // 00000000A6E0: 923C4682
	v_add_u32_e32 v5, s60, v5                                  // 00000000A6E4: 680A0A3C
	buffer_store_dwordx4 v[64:67], v5, s[36:39], 0 idxen       // 00000000A6E8: E07C2000 80094005
	s_mul_i32 s60, 2, s70                                      // 00000000A6F0: 923C4682
	v_add_u32_e32 v5, s60, v5                                  // 00000000A6F4: 680A0A3C
	s_mul_i32 s60, 12, s70                                     // 00000000A6F8: 923C468C
	v_add_u32_e32 v5, s60, v5                                  // 00000000A6FC: 680A0A3C
	s_barrier                                                  // 00000000A700: BF8A0000
	s_cmp_ge_i32 2, s73                                        // 00000000A704: BF034982
	s_cbranch_scc1 label_1AD0                                  // 00000000A708: BF8500E9
	v_accvgpr_read_b32 v34, a144                               // 00000000A70C: D3D84022 18000190
	v_accvgpr_read_b32 v35, a145                               // 00000000A714: D3D84023 18000191
	v_mul_f32_e32 v34, s47, v34                                // 00000000A71C: 0A44442F
	v_mul_f32_e32 v35, s47, v35                                // 00000000A720: 0A46462F
	v_cmp_u_f32_e64 s[74:75], v34, v34                         // 00000000A724: D048004A 00024522
	v_bfe_u32 v226, v34, 16, 1                                 // 00000000A72C: D1C800E2 02052122
	v_add3_u32 v226, v34, v226, v229                           // 00000000A734: D1FF00E2 0797C522
	v_cndmask_b32_e64 v32, v226, v228, s[74:75]                // 00000000A73C: D1000020 012BC9E2
	v_lshrrev_b32_e32 v32, 16, v32                             // 00000000A744: 20404090
	v_cmp_u_f32_e64 s[74:75], v35, v35                         // 00000000A748: D048004A 00024723
	v_bfe_u32 v226, v35, 16, 1                                 // 00000000A750: D1C800E2 02052123
	v_add3_u32 v226, v35, v226, v229                           // 00000000A758: D1FF00E2 0797C523
	v_cndmask_b32_e64 v33, v226, v228, s[74:75]                // 00000000A760: D1000021 012BC9E2
	v_and_or_b32 v68, v33, v227, v32                           // 00000000A768: D2010044 0483C721
	v_accvgpr_read_b32 v34, a146                               // 00000000A770: D3D84022 18000192
	v_accvgpr_read_b32 v35, a147                               // 00000000A778: D3D84023 18000193
	v_mul_f32_e32 v34, s47, v34                                // 00000000A780: 0A44442F
	v_mul_f32_e32 v35, s47, v35                                // 00000000A784: 0A46462F
	v_cmp_u_f32_e64 s[74:75], v34, v34                         // 00000000A788: D048004A 00024522
	v_bfe_u32 v226, v34, 16, 1                                 // 00000000A790: D1C800E2 02052122
	v_add3_u32 v226, v34, v226, v229                           // 00000000A798: D1FF00E2 0797C522
	v_cndmask_b32_e64 v32, v226, v228, s[74:75]                // 00000000A7A0: D1000020 012BC9E2
	v_lshrrev_b32_e32 v32, 16, v32                             // 00000000A7A8: 20404090
	v_cmp_u_f32_e64 s[74:75], v35, v35                         // 00000000A7AC: D048004A 00024723
	v_bfe_u32 v226, v35, 16, 1                                 // 00000000A7B4: D1C800E2 02052123
	v_add3_u32 v226, v35, v226, v229                           // 00000000A7BC: D1FF00E2 0797C523
	v_cndmask_b32_e64 v33, v226, v228, s[74:75]                // 00000000A7C4: D1000021 012BC9E2
	v_and_or_b32 v69, v33, v227, v32                           // 00000000A7CC: D2010045 0483C721
	v_accvgpr_read_b32 v34, a148                               // 00000000A7D4: D3D84022 18000194
	v_accvgpr_read_b32 v35, a149                               // 00000000A7DC: D3D84023 18000195
	v_mul_f32_e32 v34, s47, v34                                // 00000000A7E4: 0A44442F
	v_mul_f32_e32 v35, s47, v35                                // 00000000A7E8: 0A46462F
	v_cmp_u_f32_e64 s[74:75], v34, v34                         // 00000000A7EC: D048004A 00024522
	v_bfe_u32 v226, v34, 16, 1                                 // 00000000A7F4: D1C800E2 02052122
	v_add3_u32 v226, v34, v226, v229                           // 00000000A7FC: D1FF00E2 0797C522
	v_cndmask_b32_e64 v32, v226, v228, s[74:75]                // 00000000A804: D1000020 012BC9E2
	v_lshrrev_b32_e32 v32, 16, v32                             // 00000000A80C: 20404090
	v_cmp_u_f32_e64 s[74:75], v35, v35                         // 00000000A810: D048004A 00024723
	v_bfe_u32 v226, v35, 16, 1                                 // 00000000A818: D1C800E2 02052123
	v_add3_u32 v226, v35, v226, v229                           // 00000000A820: D1FF00E2 0797C523
	v_cndmask_b32_e64 v33, v226, v228, s[74:75]                // 00000000A828: D1000021 012BC9E2
	v_and_or_b32 v70, v33, v227, v32                           // 00000000A830: D2010046 0483C721
	v_accvgpr_read_b32 v34, a150                               // 00000000A838: D3D84022 18000196
	v_accvgpr_read_b32 v35, a151                               // 00000000A840: D3D84023 18000197
	v_mul_f32_e32 v34, s47, v34                                // 00000000A848: 0A44442F
	v_mul_f32_e32 v35, s47, v35                                // 00000000A84C: 0A46462F
	v_cmp_u_f32_e64 s[74:75], v34, v34                         // 00000000A850: D048004A 00024522
	v_bfe_u32 v226, v34, 16, 1                                 // 00000000A858: D1C800E2 02052122
	v_add3_u32 v226, v34, v226, v229                           // 00000000A860: D1FF00E2 0797C522
	v_cndmask_b32_e64 v32, v226, v228, s[74:75]                // 00000000A868: D1000020 012BC9E2
	v_lshrrev_b32_e32 v32, 16, v32                             // 00000000A870: 20404090
	v_cmp_u_f32_e64 s[74:75], v35, v35                         // 00000000A874: D048004A 00024723
	v_bfe_u32 v226, v35, 16, 1                                 // 00000000A87C: D1C800E2 02052123
	v_add3_u32 v226, v35, v226, v229                           // 00000000A884: D1FF00E2 0797C523
	v_cndmask_b32_e64 v33, v226, v228, s[74:75]                // 00000000A88C: D1000021 012BC9E2
	v_and_or_b32 v71, v33, v227, v32                           // 00000000A894: D2010047 0483C721
	v_accvgpr_read_b32 v34, a152                               // 00000000A89C: D3D84022 18000198
	v_accvgpr_read_b32 v35, a153                               // 00000000A8A4: D3D84023 18000199
	v_mul_f32_e32 v34, s47, v34                                // 00000000A8AC: 0A44442F
	v_mul_f32_e32 v35, s47, v35                                // 00000000A8B0: 0A46462F
	v_cmp_u_f32_e64 s[74:75], v34, v34                         // 00000000A8B4: D048004A 00024522
	v_bfe_u32 v226, v34, 16, 1                                 // 00000000A8BC: D1C800E2 02052122
	v_add3_u32 v226, v34, v226, v229                           // 00000000A8C4: D1FF00E2 0797C522
	v_cndmask_b32_e64 v32, v226, v228, s[74:75]                // 00000000A8CC: D1000020 012BC9E2
	v_lshrrev_b32_e32 v32, 16, v32                             // 00000000A8D4: 20404090
	v_cmp_u_f32_e64 s[74:75], v35, v35                         // 00000000A8D8: D048004A 00024723
	v_bfe_u32 v226, v35, 16, 1                                 // 00000000A8E0: D1C800E2 02052123
	v_add3_u32 v226, v35, v226, v229                           // 00000000A8E8: D1FF00E2 0797C523
	v_cndmask_b32_e64 v33, v226, v228, s[74:75]                // 00000000A8F0: D1000021 012BC9E2
	v_and_or_b32 v72, v33, v227, v32                           // 00000000A8F8: D2010048 0483C721
	v_accvgpr_read_b32 v34, a154                               // 00000000A900: D3D84022 1800019A
	v_accvgpr_read_b32 v35, a155                               // 00000000A908: D3D84023 1800019B
	v_mul_f32_e32 v34, s47, v34                                // 00000000A910: 0A44442F
	v_mul_f32_e32 v35, s47, v35                                // 00000000A914: 0A46462F
	v_cmp_u_f32_e64 s[74:75], v34, v34                         // 00000000A918: D048004A 00024522
	v_bfe_u32 v226, v34, 16, 1                                 // 00000000A920: D1C800E2 02052122
	v_add3_u32 v226, v34, v226, v229                           // 00000000A928: D1FF00E2 0797C522
	v_cndmask_b32_e64 v32, v226, v228, s[74:75]                // 00000000A930: D1000020 012BC9E2
	v_lshrrev_b32_e32 v32, 16, v32                             // 00000000A938: 20404090
	v_cmp_u_f32_e64 s[74:75], v35, v35                         // 00000000A93C: D048004A 00024723
	v_bfe_u32 v226, v35, 16, 1                                 // 00000000A944: D1C800E2 02052123
	v_add3_u32 v226, v35, v226, v229                           // 00000000A94C: D1FF00E2 0797C523
	v_cndmask_b32_e64 v33, v226, v228, s[74:75]                // 00000000A954: D1000021 012BC9E2
	v_and_or_b32 v73, v33, v227, v32                           // 00000000A95C: D2010049 0483C721
	v_accvgpr_read_b32 v34, a156                               // 00000000A964: D3D84022 1800019C
	v_accvgpr_read_b32 v35, a157                               // 00000000A96C: D3D84023 1800019D
	v_mul_f32_e32 v34, s47, v34                                // 00000000A974: 0A44442F
	v_mul_f32_e32 v35, s47, v35                                // 00000000A978: 0A46462F
	v_cmp_u_f32_e64 s[74:75], v34, v34                         // 00000000A97C: D048004A 00024522
	v_bfe_u32 v226, v34, 16, 1                                 // 00000000A984: D1C800E2 02052122
	v_add3_u32 v226, v34, v226, v229                           // 00000000A98C: D1FF00E2 0797C522
	v_cndmask_b32_e64 v32, v226, v228, s[74:75]                // 00000000A994: D1000020 012BC9E2
	v_lshrrev_b32_e32 v32, 16, v32                             // 00000000A99C: 20404090
	v_cmp_u_f32_e64 s[74:75], v35, v35                         // 00000000A9A0: D048004A 00024723
	v_bfe_u32 v226, v35, 16, 1                                 // 00000000A9A8: D1C800E2 02052123
	v_add3_u32 v226, v35, v226, v229                           // 00000000A9B0: D1FF00E2 0797C523
	v_cndmask_b32_e64 v33, v226, v228, s[74:75]                // 00000000A9B8: D1000021 012BC9E2
	v_and_or_b32 v74, v33, v227, v32                           // 00000000A9C0: D201004A 0483C721
	v_accvgpr_read_b32 v34, a158                               // 00000000A9C8: D3D84022 1800019E
	v_accvgpr_read_b32 v35, a159                               // 00000000A9D0: D3D84023 1800019F
	v_mul_f32_e32 v34, s47, v34                                // 00000000A9D8: 0A44442F
	v_mul_f32_e32 v35, s47, v35                                // 00000000A9DC: 0A46462F
	v_cmp_u_f32_e64 s[74:75], v34, v34                         // 00000000A9E0: D048004A 00024522
	v_bfe_u32 v226, v34, 16, 1                                 // 00000000A9E8: D1C800E2 02052122
	v_add3_u32 v226, v34, v226, v229                           // 00000000A9F0: D1FF00E2 0797C522
	v_cndmask_b32_e64 v32, v226, v228, s[74:75]                // 00000000A9F8: D1000020 012BC9E2
	v_lshrrev_b32_e32 v32, 16, v32                             // 00000000AA00: 20404090
	v_cmp_u_f32_e64 s[74:75], v35, v35                         // 00000000AA04: D048004A 00024723
	v_bfe_u32 v226, v35, 16, 1                                 // 00000000AA0C: D1C800E2 02052123
	v_add3_u32 v226, v35, v226, v229                           // 00000000AA14: D1FF00E2 0797C523
	v_cndmask_b32_e64 v33, v226, v228, s[74:75]                // 00000000AA1C: D1000021 012BC9E2
	v_and_or_b32 v75, v33, v227, v32                           // 00000000AA24: D201004B 0483C721
	ds_write_b64 v27, v[68:69] offset:17408                    // 00000000AA2C: D89A4400 0000441B
	ds_write_b64 v27, v[70:71] offset:17952                    // 00000000AA34: D89A4620 0000461B
	ds_write_b64 v27, v[72:73] offset:18496                    // 00000000AA3C: D89A4840 0000481B
	ds_write_b64 v27, v[74:75] offset:19040                    // 00000000AA44: D89A4A60 00004A1B
	s_waitcnt lgkmcnt(0)                                       // 00000000AA4C: BF8CC07F
	s_barrier                                                  // 00000000AA50: BF8A0000
	ds_read_b64 v[68:69], v26 offset:17408                     // 00000000AA54: D8EC4400 4400001A
	ds_read_b64 v[70:71], v26 offset:17536                     // 00000000AA5C: D8EC4480 4600001A
	ds_read_b64 v[72:73], v26 offset:17472                     // 00000000AA64: D8EC4440 4800001A
	ds_read_b64 v[74:75], v26 offset:17600                     // 00000000AA6C: D8EC44C0 4A00001A
	s_waitcnt lgkmcnt(0)                                       // 00000000AA74: BF8CC07F
	s_mov_b32 s70, s52                                         // 00000000AA78: BEC60034
	buffer_store_dwordx4 v[68:71], v5, s[36:39], 0 idxen       // 00000000AA7C: E07C2000 80094405
	s_mul_i32 s60, 2, s70                                      // 00000000AA84: 923C4682
	v_add_u32_e32 v5, s60, v5                                  // 00000000AA88: 680A0A3C
	buffer_store_dwordx4 v[72:75], v5, s[36:39], 0 idxen       // 00000000AA8C: E07C2000 80094805
	s_mul_i32 s60, 2, s70                                      // 00000000AA94: 923C4682
	v_add_u32_e32 v5, s60, v5                                  // 00000000AA98: 680A0A3C
	s_mul_i32 s60, 12, s70                                     // 00000000AA9C: 923C468C
	v_add_u32_e32 v5, s60, v5                                  // 00000000AAA0: 680A0A3C
	s_barrier                                                  // 00000000AAA4: BF8A0000
	s_cmp_ge_i32 3, s73                                        // 00000000AAA8: BF034983
	s_cbranch_scc1 label_1AD0                                  // 00000000AAAC: BF850000

000000000000aab0 <label_1AD0>:
	v_mov_b32_e32 v34, v178                                    // 00000000AAB0: 7E4403B2
	v_mov_b32_e32 v35, v179                                    // 00000000AAB4: 7E4603B3
	v_cmp_u_f32_e64 s[74:75], v34, v34                         // 00000000AAB8: D048004A 00024522
	v_bfe_u32 v226, v34, 16, 1                                 // 00000000AAC0: D1C800E2 02052122
	v_add3_u32 v226, v34, v226, v229                           // 00000000AAC8: D1FF00E2 0797C522
	v_cndmask_b32_e64 v32, v226, v228, s[74:75]                // 00000000AAD0: D1000020 012BC9E2
	v_lshrrev_b32_e32 v32, 16, v32                             // 00000000AAD8: 20404090
	v_cmp_u_f32_e64 s[74:75], v35, v35                         // 00000000AADC: D048004A 00024723
	v_bfe_u32 v226, v35, 16, 1                                 // 00000000AAE4: D1C800E2 02052123
	v_add3_u32 v226, v35, v226, v229                           // 00000000AAEC: D1FF00E2 0797C523
	v_cndmask_b32_e64 v33, v226, v228, s[74:75]                // 00000000AAF4: D1000021 012BC9E2
	v_and_or_b32 v178, v33, v227, v32                          // 00000000AAFC: D20100B2 0483C721
	v_mov_b32_e32 v34, v180                                    // 00000000AB04: 7E4403B4
	v_mov_b32_e32 v35, v181                                    // 00000000AB08: 7E4603B5
	v_cmp_u_f32_e64 s[74:75], v34, v34                         // 00000000AB0C: D048004A 00024522
	v_bfe_u32 v226, v34, 16, 1                                 // 00000000AB14: D1C800E2 02052122
	v_add3_u32 v226, v34, v226, v229                           // 00000000AB1C: D1FF00E2 0797C522
	v_cndmask_b32_e64 v32, v226, v228, s[74:75]                // 00000000AB24: D1000020 012BC9E2
	v_lshrrev_b32_e32 v32, 16, v32                             // 00000000AB2C: 20404090
	v_cmp_u_f32_e64 s[74:75], v35, v35                         // 00000000AB30: D048004A 00024723
	v_bfe_u32 v226, v35, 16, 1                                 // 00000000AB38: D1C800E2 02052123
	v_add3_u32 v226, v35, v226, v229                           // 00000000AB40: D1FF00E2 0797C523
	v_cndmask_b32_e64 v33, v226, v228, s[74:75]                // 00000000AB48: D1000021 012BC9E2
	v_and_or_b32 v179, v33, v227, v32                          // 00000000AB50: D20100B3 0483C721
	v_mov_b32_e32 v34, v182                                    // 00000000AB58: 7E4403B6
	v_mov_b32_e32 v35, v183                                    // 00000000AB5C: 7E4603B7
	v_cmp_u_f32_e64 s[74:75], v34, v34                         // 00000000AB60: D048004A 00024522
	v_bfe_u32 v226, v34, 16, 1                                 // 00000000AB68: D1C800E2 02052122
	v_add3_u32 v226, v34, v226, v229                           // 00000000AB70: D1FF00E2 0797C522
	v_cndmask_b32_e64 v32, v226, v228, s[74:75]                // 00000000AB78: D1000020 012BC9E2
	v_lshrrev_b32_e32 v32, 16, v32                             // 00000000AB80: 20404090
	v_cmp_u_f32_e64 s[74:75], v35, v35                         // 00000000AB84: D048004A 00024723
	v_bfe_u32 v226, v35, 16, 1                                 // 00000000AB8C: D1C800E2 02052123
	v_add3_u32 v226, v35, v226, v229                           // 00000000AB94: D1FF00E2 0797C523
	v_cndmask_b32_e64 v33, v226, v228, s[74:75]                // 00000000AB9C: D1000021 012BC9E2
	v_and_or_b32 v180, v33, v227, v32                          // 00000000ABA4: D20100B4 0483C721
	v_mov_b32_e32 v34, v184                                    // 00000000ABAC: 7E4403B8
	v_mov_b32_e32 v35, v185                                    // 00000000ABB0: 7E4603B9
	v_cmp_u_f32_e64 s[74:75], v34, v34                         // 00000000ABB4: D048004A 00024522
	v_bfe_u32 v226, v34, 16, 1                                 // 00000000ABBC: D1C800E2 02052122
	v_add3_u32 v226, v34, v226, v229                           // 00000000ABC4: D1FF00E2 0797C522
	v_cndmask_b32_e64 v32, v226, v228, s[74:75]                // 00000000ABCC: D1000020 012BC9E2
	v_lshrrev_b32_e32 v32, 16, v32                             // 00000000ABD4: 20404090
	v_cmp_u_f32_e64 s[74:75], v35, v35                         // 00000000ABD8: D048004A 00024723
	v_bfe_u32 v226, v35, 16, 1                                 // 00000000ABE0: D1C800E2 02052123
	v_add3_u32 v226, v35, v226, v229                           // 00000000ABE8: D1FF00E2 0797C523
	v_cndmask_b32_e64 v33, v226, v228, s[74:75]                // 00000000ABF0: D1000021 012BC9E2
	v_and_or_b32 v181, v33, v227, v32                          // 00000000ABF8: D20100B5 0483C721
	v_mov_b32_e32 v34, v186                                    // 00000000AC00: 7E4403BA
	v_mov_b32_e32 v35, v187                                    // 00000000AC04: 7E4603BB
	v_cmp_u_f32_e64 s[74:75], v34, v34                         // 00000000AC08: D048004A 00024522
	v_bfe_u32 v226, v34, 16, 1                                 // 00000000AC10: D1C800E2 02052122
	v_add3_u32 v226, v34, v226, v229                           // 00000000AC18: D1FF00E2 0797C522
	v_cndmask_b32_e64 v32, v226, v228, s[74:75]                // 00000000AC20: D1000020 012BC9E2
	v_lshrrev_b32_e32 v32, 16, v32                             // 00000000AC28: 20404090
	v_cmp_u_f32_e64 s[74:75], v35, v35                         // 00000000AC2C: D048004A 00024723
	v_bfe_u32 v226, v35, 16, 1                                 // 00000000AC34: D1C800E2 02052123
	v_add3_u32 v226, v35, v226, v229                           // 00000000AC3C: D1FF00E2 0797C523
	v_cndmask_b32_e64 v33, v226, v228, s[74:75]                // 00000000AC44: D1000021 012BC9E2
	v_and_or_b32 v182, v33, v227, v32                          // 00000000AC4C: D20100B6 0483C721
	v_mov_b32_e32 v34, v188                                    // 00000000AC54: 7E4403BC
	v_mov_b32_e32 v35, v189                                    // 00000000AC58: 7E4603BD
	v_cmp_u_f32_e64 s[74:75], v34, v34                         // 00000000AC5C: D048004A 00024522
	v_bfe_u32 v226, v34, 16, 1                                 // 00000000AC64: D1C800E2 02052122
	v_add3_u32 v226, v34, v226, v229                           // 00000000AC6C: D1FF00E2 0797C522
	v_cndmask_b32_e64 v32, v226, v228, s[74:75]                // 00000000AC74: D1000020 012BC9E2
	v_lshrrev_b32_e32 v32, 16, v32                             // 00000000AC7C: 20404090
	v_cmp_u_f32_e64 s[74:75], v35, v35                         // 00000000AC80: D048004A 00024723
	v_bfe_u32 v226, v35, 16, 1                                 // 00000000AC88: D1C800E2 02052123
	v_add3_u32 v226, v35, v226, v229                           // 00000000AC90: D1FF00E2 0797C523
	v_cndmask_b32_e64 v33, v226, v228, s[74:75]                // 00000000AC98: D1000021 012BC9E2
	v_and_or_b32 v183, v33, v227, v32                          // 00000000ACA0: D20100B7 0483C721
	v_mov_b32_e32 v34, v190                                    // 00000000ACA8: 7E4403BE
	v_mov_b32_e32 v35, v191                                    // 00000000ACAC: 7E4603BF
	v_cmp_u_f32_e64 s[74:75], v34, v34                         // 00000000ACB0: D048004A 00024522
	v_bfe_u32 v226, v34, 16, 1                                 // 00000000ACB8: D1C800E2 02052122
	v_add3_u32 v226, v34, v226, v229                           // 00000000ACC0: D1FF00E2 0797C522
	v_cndmask_b32_e64 v32, v226, v228, s[74:75]                // 00000000ACC8: D1000020 012BC9E2
	v_lshrrev_b32_e32 v32, 16, v32                             // 00000000ACD0: 20404090
	v_cmp_u_f32_e64 s[74:75], v35, v35                         // 00000000ACD4: D048004A 00024723
	v_bfe_u32 v226, v35, 16, 1                                 // 00000000ACDC: D1C800E2 02052123
	v_add3_u32 v226, v35, v226, v229                           // 00000000ACE4: D1FF00E2 0797C523
	v_cndmask_b32_e64 v33, v226, v228, s[74:75]                // 00000000ACEC: D1000021 012BC9E2
	v_and_or_b32 v184, v33, v227, v32                          // 00000000ACF4: D20100B8 0483C721
	v_mov_b32_e32 v34, v192                                    // 00000000ACFC: 7E4403C0
	v_mov_b32_e32 v35, v193                                    // 00000000AD00: 7E4603C1
	v_cmp_u_f32_e64 s[74:75], v34, v34                         // 00000000AD04: D048004A 00024522
	v_bfe_u32 v226, v34, 16, 1                                 // 00000000AD0C: D1C800E2 02052122
	v_add3_u32 v226, v34, v226, v229                           // 00000000AD14: D1FF00E2 0797C522
	v_cndmask_b32_e64 v32, v226, v228, s[74:75]                // 00000000AD1C: D1000020 012BC9E2
	v_lshrrev_b32_e32 v32, 16, v32                             // 00000000AD24: 20404090
	v_cmp_u_f32_e64 s[74:75], v35, v35                         // 00000000AD28: D048004A 00024723
	v_bfe_u32 v226, v35, 16, 1                                 // 00000000AD30: D1C800E2 02052123
	v_add3_u32 v226, v35, v226, v229                           // 00000000AD38: D1FF00E2 0797C523
	v_cndmask_b32_e64 v33, v226, v228, s[74:75]                // 00000000AD40: D1000021 012BC9E2
	v_and_or_b32 v185, v33, v227, v32                          // 00000000AD48: D20100B9 0483C721
	ds_write_b64 v27, v[178:179]                               // 00000000AD50: D89A0000 0000B21B
	ds_write_b64 v27, v[180:181] offset:544                    // 00000000AD58: D89A0220 0000B41B
	ds_write_b64 v27, v[182:183] offset:1088                   // 00000000AD60: D89A0440 0000B61B
	ds_write_b64 v27, v[184:185] offset:1632                   // 00000000AD68: D89A0660 0000B81B
	s_waitcnt lgkmcnt(0)                                       // 00000000AD70: BF8CC07F
	s_barrier                                                  // 00000000AD74: BF8A0000
	ds_read_b64 v[178:179], v26                                // 00000000AD78: D8EC0000 B200001A
	ds_read_b64 v[180:181], v26 offset:128                     // 00000000AD80: D8EC0080 B400001A
	ds_read_b64 v[182:183], v26 offset:64                      // 00000000AD88: D8EC0040 B600001A
	ds_read_b64 v[184:185], v26 offset:192                     // 00000000AD90: D8EC00C0 B800001A
	s_waitcnt lgkmcnt(0)                                       // 00000000AD98: BF8CC07F
	s_mov_b32 s70, s53                                         // 00000000AD9C: BEC60035
	buffer_store_dwordx4 v[178:181], v10, s[40:43], 0 idxen    // 00000000ADA0: E07C2000 800AB20A
	s_mul_i32 s60, 2, s70                                      // 00000000ADA8: 923C4682
	v_add_u32_e32 v10, s60, v10                                // 00000000ADAC: 6814143C
	buffer_store_dwordx4 v[182:185], v10, s[40:43], 0 idxen    // 00000000ADB0: E07C2000 800AB60A
	s_mul_i32 s60, 2, s70                                      // 00000000ADB8: 923C4682
	v_add_u32_e32 v10, s60, v10                                // 00000000ADBC: 6814143C
	s_mul_i32 s60, 12, s70                                     // 00000000ADC0: 923C468C
	v_add_u32_e32 v10, s60, v10                                // 00000000ADC4: 6814143C
	s_cmp_ge_i32 1, s73                                        // 00000000ADC8: BF034981
	s_cbranch_scc1 label_1D28                                  // 00000000ADCC: BF850190
	v_mov_b32_e32 v34, v194                                    // 00000000ADD0: 7E4403C2
	v_mov_b32_e32 v35, v195                                    // 00000000ADD4: 7E4603C3
	v_cmp_u_f32_e64 s[74:75], v34, v34                         // 00000000ADD8: D048004A 00024522
	v_bfe_u32 v226, v34, 16, 1                                 // 00000000ADE0: D1C800E2 02052122
	v_add3_u32 v226, v34, v226, v229                           // 00000000ADE8: D1FF00E2 0797C522
	v_cndmask_b32_e64 v32, v226, v228, s[74:75]                // 00000000ADF0: D1000020 012BC9E2
	v_lshrrev_b32_e32 v32, 16, v32                             // 00000000ADF8: 20404090
	v_cmp_u_f32_e64 s[74:75], v35, v35                         // 00000000ADFC: D048004A 00024723
	v_bfe_u32 v226, v35, 16, 1                                 // 00000000AE04: D1C800E2 02052123
	v_add3_u32 v226, v35, v226, v229                           // 00000000AE0C: D1FF00E2 0797C523
	v_cndmask_b32_e64 v33, v226, v228, s[74:75]                // 00000000AE14: D1000021 012BC9E2
	v_and_or_b32 v186, v33, v227, v32                          // 00000000AE1C: D20100BA 0483C721
	v_mov_b32_e32 v34, v196                                    // 00000000AE24: 7E4403C4
	v_mov_b32_e32 v35, v197                                    // 00000000AE28: 7E4603C5
	v_cmp_u_f32_e64 s[74:75], v34, v34                         // 00000000AE2C: D048004A 00024522
	v_bfe_u32 v226, v34, 16, 1                                 // 00000000AE34: D1C800E2 02052122
	v_add3_u32 v226, v34, v226, v229                           // 00000000AE3C: D1FF00E2 0797C522
	v_cndmask_b32_e64 v32, v226, v228, s[74:75]                // 00000000AE44: D1000020 012BC9E2
	v_lshrrev_b32_e32 v32, 16, v32                             // 00000000AE4C: 20404090
	v_cmp_u_f32_e64 s[74:75], v35, v35                         // 00000000AE50: D048004A 00024723
	v_bfe_u32 v226, v35, 16, 1                                 // 00000000AE58: D1C800E2 02052123
	v_add3_u32 v226, v35, v226, v229                           // 00000000AE60: D1FF00E2 0797C523
	v_cndmask_b32_e64 v33, v226, v228, s[74:75]                // 00000000AE68: D1000021 012BC9E2
	v_and_or_b32 v187, v33, v227, v32                          // 00000000AE70: D20100BB 0483C721
	v_mov_b32_e32 v34, v198                                    // 00000000AE78: 7E4403C6
	v_mov_b32_e32 v35, v199                                    // 00000000AE7C: 7E4603C7
	v_cmp_u_f32_e64 s[74:75], v34, v34                         // 00000000AE80: D048004A 00024522
	v_bfe_u32 v226, v34, 16, 1                                 // 00000000AE88: D1C800E2 02052122
	v_add3_u32 v226, v34, v226, v229                           // 00000000AE90: D1FF00E2 0797C522
	v_cndmask_b32_e64 v32, v226, v228, s[74:75]                // 00000000AE98: D1000020 012BC9E2
	v_lshrrev_b32_e32 v32, 16, v32                             // 00000000AEA0: 20404090
	v_cmp_u_f32_e64 s[74:75], v35, v35                         // 00000000AEA4: D048004A 00024723
	v_bfe_u32 v226, v35, 16, 1                                 // 00000000AEAC: D1C800E2 02052123
	v_add3_u32 v226, v35, v226, v229                           // 00000000AEB4: D1FF00E2 0797C523
	v_cndmask_b32_e64 v33, v226, v228, s[74:75]                // 00000000AEBC: D1000021 012BC9E2
	v_and_or_b32 v188, v33, v227, v32                          // 00000000AEC4: D20100BC 0483C721
	v_mov_b32_e32 v34, v200                                    // 00000000AECC: 7E4403C8
	v_mov_b32_e32 v35, v201                                    // 00000000AED0: 7E4603C9
	v_cmp_u_f32_e64 s[74:75], v34, v34                         // 00000000AED4: D048004A 00024522
	v_bfe_u32 v226, v34, 16, 1                                 // 00000000AEDC: D1C800E2 02052122
	v_add3_u32 v226, v34, v226, v229                           // 00000000AEE4: D1FF00E2 0797C522
	v_cndmask_b32_e64 v32, v226, v228, s[74:75]                // 00000000AEEC: D1000020 012BC9E2
	v_lshrrev_b32_e32 v32, 16, v32                             // 00000000AEF4: 20404090
	v_cmp_u_f32_e64 s[74:75], v35, v35                         // 00000000AEF8: D048004A 00024723
	v_bfe_u32 v226, v35, 16, 1                                 // 00000000AF00: D1C800E2 02052123
	v_add3_u32 v226, v35, v226, v229                           // 00000000AF08: D1FF00E2 0797C523
	v_cndmask_b32_e64 v33, v226, v228, s[74:75]                // 00000000AF10: D1000021 012BC9E2
	v_and_or_b32 v189, v33, v227, v32                          // 00000000AF18: D20100BD 0483C721
	v_mov_b32_e32 v34, v202                                    // 00000000AF20: 7E4403CA
	v_mov_b32_e32 v35, v203                                    // 00000000AF24: 7E4603CB
	v_cmp_u_f32_e64 s[74:75], v34, v34                         // 00000000AF28: D048004A 00024522
	v_bfe_u32 v226, v34, 16, 1                                 // 00000000AF30: D1C800E2 02052122
	v_add3_u32 v226, v34, v226, v229                           // 00000000AF38: D1FF00E2 0797C522
	v_cndmask_b32_e64 v32, v226, v228, s[74:75]                // 00000000AF40: D1000020 012BC9E2
	v_lshrrev_b32_e32 v32, 16, v32                             // 00000000AF48: 20404090
	v_cmp_u_f32_e64 s[74:75], v35, v35                         // 00000000AF4C: D048004A 00024723
	v_bfe_u32 v226, v35, 16, 1                                 // 00000000AF54: D1C800E2 02052123
	v_add3_u32 v226, v35, v226, v229                           // 00000000AF5C: D1FF00E2 0797C523
	v_cndmask_b32_e64 v33, v226, v228, s[74:75]                // 00000000AF64: D1000021 012BC9E2
	v_and_or_b32 v190, v33, v227, v32                          // 00000000AF6C: D20100BE 0483C721
	v_mov_b32_e32 v34, v204                                    // 00000000AF74: 7E4403CC
	v_mov_b32_e32 v35, v205                                    // 00000000AF78: 7E4603CD
	v_cmp_u_f32_e64 s[74:75], v34, v34                         // 00000000AF7C: D048004A 00024522
	v_bfe_u32 v226, v34, 16, 1                                 // 00000000AF84: D1C800E2 02052122
	v_add3_u32 v226, v34, v226, v229                           // 00000000AF8C: D1FF00E2 0797C522
	v_cndmask_b32_e64 v32, v226, v228, s[74:75]                // 00000000AF94: D1000020 012BC9E2
	v_lshrrev_b32_e32 v32, 16, v32                             // 00000000AF9C: 20404090
	v_cmp_u_f32_e64 s[74:75], v35, v35                         // 00000000AFA0: D048004A 00024723
	v_bfe_u32 v226, v35, 16, 1                                 // 00000000AFA8: D1C800E2 02052123
	v_add3_u32 v226, v35, v226, v229                           // 00000000AFB0: D1FF00E2 0797C523
	v_cndmask_b32_e64 v33, v226, v228, s[74:75]                // 00000000AFB8: D1000021 012BC9E2
	v_and_or_b32 v191, v33, v227, v32                          // 00000000AFC0: D20100BF 0483C721
	v_mov_b32_e32 v34, v206                                    // 00000000AFC8: 7E4403CE
	v_mov_b32_e32 v35, v207                                    // 00000000AFCC: 7E4603CF
	v_cmp_u_f32_e64 s[74:75], v34, v34                         // 00000000AFD0: D048004A 00024522
	v_bfe_u32 v226, v34, 16, 1                                 // 00000000AFD8: D1C800E2 02052122
	v_add3_u32 v226, v34, v226, v229                           // 00000000AFE0: D1FF00E2 0797C522
	v_cndmask_b32_e64 v32, v226, v228, s[74:75]                // 00000000AFE8: D1000020 012BC9E2
	v_lshrrev_b32_e32 v32, 16, v32                             // 00000000AFF0: 20404090
	v_cmp_u_f32_e64 s[74:75], v35, v35                         // 00000000AFF4: D048004A 00024723
	v_bfe_u32 v226, v35, 16, 1                                 // 00000000AFFC: D1C800E2 02052123
	v_add3_u32 v226, v35, v226, v229                           // 00000000B004: D1FF00E2 0797C523
	v_cndmask_b32_e64 v33, v226, v228, s[74:75]                // 00000000B00C: D1000021 012BC9E2
	v_and_or_b32 v192, v33, v227, v32                          // 00000000B014: D20100C0 0483C721
	v_mov_b32_e32 v34, v208                                    // 00000000B01C: 7E4403D0
	v_mov_b32_e32 v35, v209                                    // 00000000B020: 7E4603D1
	v_cmp_u_f32_e64 s[74:75], v34, v34                         // 00000000B024: D048004A 00024522
	v_bfe_u32 v226, v34, 16, 1                                 // 00000000B02C: D1C800E2 02052122
	v_add3_u32 v226, v34, v226, v229                           // 00000000B034: D1FF00E2 0797C522
	v_cndmask_b32_e64 v32, v226, v228, s[74:75]                // 00000000B03C: D1000020 012BC9E2
	v_lshrrev_b32_e32 v32, 16, v32                             // 00000000B044: 20404090
	v_cmp_u_f32_e64 s[74:75], v35, v35                         // 00000000B048: D048004A 00024723
	v_bfe_u32 v226, v35, 16, 1                                 // 00000000B050: D1C800E2 02052123
	v_add3_u32 v226, v35, v226, v229                           // 00000000B058: D1FF00E2 0797C523
	v_cndmask_b32_e64 v33, v226, v228, s[74:75]                // 00000000B060: D1000021 012BC9E2
	v_and_or_b32 v193, v33, v227, v32                          // 00000000B068: D20100C1 0483C721
	ds_write_b64 v27, v[186:187] offset:8704                   // 00000000B070: D89A2200 0000BA1B
	ds_write_b64 v27, v[188:189] offset:9248                   // 00000000B078: D89A2420 0000BC1B
	ds_write_b64 v27, v[190:191] offset:9792                   // 00000000B080: D89A2640 0000BE1B
	ds_write_b64 v27, v[192:193] offset:10336                  // 00000000B088: D89A2860 0000C01B
	s_waitcnt lgkmcnt(0)                                       // 00000000B090: BF8CC07F
	s_barrier                                                  // 00000000B094: BF8A0000
	ds_read_b64 v[186:187], v26 offset:8704                    // 00000000B098: D8EC2200 BA00001A
	ds_read_b64 v[188:189], v26 offset:8832                    // 00000000B0A0: D8EC2280 BC00001A
	ds_read_b64 v[190:191], v26 offset:8768                    // 00000000B0A8: D8EC2240 BE00001A
	ds_read_b64 v[192:193], v26 offset:8896                    // 00000000B0B0: D8EC22C0 C000001A
	s_waitcnt lgkmcnt(0)                                       // 00000000B0B8: BF8CC07F
	s_mov_b32 s70, s53                                         // 00000000B0BC: BEC60035
	buffer_store_dwordx4 v[186:189], v10, s[40:43], 0 idxen    // 00000000B0C0: E07C2000 800ABA0A
	s_mul_i32 s60, 2, s70                                      // 00000000B0C8: 923C4682
	v_add_u32_e32 v10, s60, v10                                // 00000000B0CC: 6814143C
	buffer_store_dwordx4 v[190:193], v10, s[40:43], 0 idxen    // 00000000B0D0: E07C2000 800ABE0A
	s_mul_i32 s60, 2, s70                                      // 00000000B0D8: 923C4682
	v_add_u32_e32 v10, s60, v10                                // 00000000B0DC: 6814143C
	s_mul_i32 s60, 12, s70                                     // 00000000B0E0: 923C468C
	v_add_u32_e32 v10, s60, v10                                // 00000000B0E4: 6814143C
	s_cmp_ge_i32 2, s73                                        // 00000000B0E8: BF034982
	s_cbranch_scc1 label_1D28                                  // 00000000B0EC: BF8500C8
	v_mov_b32_e32 v34, v210                                    // 00000000B0F0: 7E4403D2
	v_mov_b32_e32 v35, v211                                    // 00000000B0F4: 7E4603D3
	v_cmp_u_f32_e64 s[74:75], v34, v34                         // 00000000B0F8: D048004A 00024522
	v_bfe_u32 v226, v34, 16, 1                                 // 00000000B100: D1C800E2 02052122
	v_add3_u32 v226, v34, v226, v229                           // 00000000B108: D1FF00E2 0797C522
	v_cndmask_b32_e64 v32, v226, v228, s[74:75]                // 00000000B110: D1000020 012BC9E2
	v_lshrrev_b32_e32 v32, 16, v32                             // 00000000B118: 20404090
	v_cmp_u_f32_e64 s[74:75], v35, v35                         // 00000000B11C: D048004A 00024723
	v_bfe_u32 v226, v35, 16, 1                                 // 00000000B124: D1C800E2 02052123
	v_add3_u32 v226, v35, v226, v229                           // 00000000B12C: D1FF00E2 0797C523
	v_cndmask_b32_e64 v33, v226, v228, s[74:75]                // 00000000B134: D1000021 012BC9E2
	v_and_or_b32 v194, v33, v227, v32                          // 00000000B13C: D20100C2 0483C721
	v_mov_b32_e32 v34, v212                                    // 00000000B144: 7E4403D4
	v_mov_b32_e32 v35, v213                                    // 00000000B148: 7E4603D5
	v_cmp_u_f32_e64 s[74:75], v34, v34                         // 00000000B14C: D048004A 00024522
	v_bfe_u32 v226, v34, 16, 1                                 // 00000000B154: D1C800E2 02052122
	v_add3_u32 v226, v34, v226, v229                           // 00000000B15C: D1FF00E2 0797C522
	v_cndmask_b32_e64 v32, v226, v228, s[74:75]                // 00000000B164: D1000020 012BC9E2
	v_lshrrev_b32_e32 v32, 16, v32                             // 00000000B16C: 20404090
	v_cmp_u_f32_e64 s[74:75], v35, v35                         // 00000000B170: D048004A 00024723
	v_bfe_u32 v226, v35, 16, 1                                 // 00000000B178: D1C800E2 02052123
	v_add3_u32 v226, v35, v226, v229                           // 00000000B180: D1FF00E2 0797C523
	v_cndmask_b32_e64 v33, v226, v228, s[74:75]                // 00000000B188: D1000021 012BC9E2
	v_and_or_b32 v195, v33, v227, v32                          // 00000000B190: D20100C3 0483C721
	v_mov_b32_e32 v34, v214                                    // 00000000B198: 7E4403D6
	v_mov_b32_e32 v35, v215                                    // 00000000B19C: 7E4603D7
	v_cmp_u_f32_e64 s[74:75], v34, v34                         // 00000000B1A0: D048004A 00024522
	v_bfe_u32 v226, v34, 16, 1                                 // 00000000B1A8: D1C800E2 02052122
	v_add3_u32 v226, v34, v226, v229                           // 00000000B1B0: D1FF00E2 0797C522
	v_cndmask_b32_e64 v32, v226, v228, s[74:75]                // 00000000B1B8: D1000020 012BC9E2
	v_lshrrev_b32_e32 v32, 16, v32                             // 00000000B1C0: 20404090
	v_cmp_u_f32_e64 s[74:75], v35, v35                         // 00000000B1C4: D048004A 00024723
	v_bfe_u32 v226, v35, 16, 1                                 // 00000000B1CC: D1C800E2 02052123
	v_add3_u32 v226, v35, v226, v229                           // 00000000B1D4: D1FF00E2 0797C523
	v_cndmask_b32_e64 v33, v226, v228, s[74:75]                // 00000000B1DC: D1000021 012BC9E2
	v_and_or_b32 v196, v33, v227, v32                          // 00000000B1E4: D20100C4 0483C721
	v_mov_b32_e32 v34, v216                                    // 00000000B1EC: 7E4403D8
	v_mov_b32_e32 v35, v217                                    // 00000000B1F0: 7E4603D9
	v_cmp_u_f32_e64 s[74:75], v34, v34                         // 00000000B1F4: D048004A 00024522
	v_bfe_u32 v226, v34, 16, 1                                 // 00000000B1FC: D1C800E2 02052122
	v_add3_u32 v226, v34, v226, v229                           // 00000000B204: D1FF00E2 0797C522
	v_cndmask_b32_e64 v32, v226, v228, s[74:75]                // 00000000B20C: D1000020 012BC9E2
	v_lshrrev_b32_e32 v32, 16, v32                             // 00000000B214: 20404090
	v_cmp_u_f32_e64 s[74:75], v35, v35                         // 00000000B218: D048004A 00024723
	v_bfe_u32 v226, v35, 16, 1                                 // 00000000B220: D1C800E2 02052123
	v_add3_u32 v226, v35, v226, v229                           // 00000000B228: D1FF00E2 0797C523
	v_cndmask_b32_e64 v33, v226, v228, s[74:75]                // 00000000B230: D1000021 012BC9E2
	v_and_or_b32 v197, v33, v227, v32                          // 00000000B238: D20100C5 0483C721
	v_mov_b32_e32 v34, v218                                    // 00000000B240: 7E4403DA
	v_mov_b32_e32 v35, v219                                    // 00000000B244: 7E4603DB
	v_cmp_u_f32_e64 s[74:75], v34, v34                         // 00000000B248: D048004A 00024522
	v_bfe_u32 v226, v34, 16, 1                                 // 00000000B250: D1C800E2 02052122
	v_add3_u32 v226, v34, v226, v229                           // 00000000B258: D1FF00E2 0797C522
	v_cndmask_b32_e64 v32, v226, v228, s[74:75]                // 00000000B260: D1000020 012BC9E2
	v_lshrrev_b32_e32 v32, 16, v32                             // 00000000B268: 20404090
	v_cmp_u_f32_e64 s[74:75], v35, v35                         // 00000000B26C: D048004A 00024723
	v_bfe_u32 v226, v35, 16, 1                                 // 00000000B274: D1C800E2 02052123
	v_add3_u32 v226, v35, v226, v229                           // 00000000B27C: D1FF00E2 0797C523
	v_cndmask_b32_e64 v33, v226, v228, s[74:75]                // 00000000B284: D1000021 012BC9E2
	v_and_or_b32 v198, v33, v227, v32                          // 00000000B28C: D20100C6 0483C721
	v_mov_b32_e32 v34, v220                                    // 00000000B294: 7E4403DC
	v_mov_b32_e32 v35, v221                                    // 00000000B298: 7E4603DD
	v_cmp_u_f32_e64 s[74:75], v34, v34                         // 00000000B29C: D048004A 00024522
	v_bfe_u32 v226, v34, 16, 1                                 // 00000000B2A4: D1C800E2 02052122
	v_add3_u32 v226, v34, v226, v229                           // 00000000B2AC: D1FF00E2 0797C522
	v_cndmask_b32_e64 v32, v226, v228, s[74:75]                // 00000000B2B4: D1000020 012BC9E2
	v_lshrrev_b32_e32 v32, 16, v32                             // 00000000B2BC: 20404090
	v_cmp_u_f32_e64 s[74:75], v35, v35                         // 00000000B2C0: D048004A 00024723
	v_bfe_u32 v226, v35, 16, 1                                 // 00000000B2C8: D1C800E2 02052123
	v_add3_u32 v226, v35, v226, v229                           // 00000000B2D0: D1FF00E2 0797C523
	v_cndmask_b32_e64 v33, v226, v228, s[74:75]                // 00000000B2D8: D1000021 012BC9E2
	v_and_or_b32 v199, v33, v227, v32                          // 00000000B2E0: D20100C7 0483C721
	v_mov_b32_e32 v34, v222                                    // 00000000B2E8: 7E4403DE
	v_mov_b32_e32 v35, v223                                    // 00000000B2EC: 7E4603DF
	v_cmp_u_f32_e64 s[74:75], v34, v34                         // 00000000B2F0: D048004A 00024522
	v_bfe_u32 v226, v34, 16, 1                                 // 00000000B2F8: D1C800E2 02052122
	v_add3_u32 v226, v34, v226, v229                           // 00000000B300: D1FF00E2 0797C522
	v_cndmask_b32_e64 v32, v226, v228, s[74:75]                // 00000000B308: D1000020 012BC9E2
	v_lshrrev_b32_e32 v32, 16, v32                             // 00000000B310: 20404090
	v_cmp_u_f32_e64 s[74:75], v35, v35                         // 00000000B314: D048004A 00024723
	v_bfe_u32 v226, v35, 16, 1                                 // 00000000B31C: D1C800E2 02052123
	v_add3_u32 v226, v35, v226, v229                           // 00000000B324: D1FF00E2 0797C523
	v_cndmask_b32_e64 v33, v226, v228, s[74:75]                // 00000000B32C: D1000021 012BC9E2
	v_and_or_b32 v200, v33, v227, v32                          // 00000000B334: D20100C8 0483C721
	v_mov_b32_e32 v34, v224                                    // 00000000B33C: 7E4403E0
	v_mov_b32_e32 v35, v225                                    // 00000000B340: 7E4603E1
	v_cmp_u_f32_e64 s[74:75], v34, v34                         // 00000000B344: D048004A 00024522
	v_bfe_u32 v226, v34, 16, 1                                 // 00000000B34C: D1C800E2 02052122
	v_add3_u32 v226, v34, v226, v229                           // 00000000B354: D1FF00E2 0797C522
	v_cndmask_b32_e64 v32, v226, v228, s[74:75]                // 00000000B35C: D1000020 012BC9E2
	v_lshrrev_b32_e32 v32, 16, v32                             // 00000000B364: 20404090
	v_cmp_u_f32_e64 s[74:75], v35, v35                         // 00000000B368: D048004A 00024723
	v_bfe_u32 v226, v35, 16, 1                                 // 00000000B370: D1C800E2 02052123
	v_add3_u32 v226, v35, v226, v229                           // 00000000B378: D1FF00E2 0797C523
	v_cndmask_b32_e64 v33, v226, v228, s[74:75]                // 00000000B380: D1000021 012BC9E2
	v_and_or_b32 v201, v33, v227, v32                          // 00000000B388: D20100C9 0483C721
	ds_write_b64 v27, v[194:195] offset:17408                  // 00000000B390: D89A4400 0000C21B
	ds_write_b64 v27, v[196:197] offset:17952                  // 00000000B398: D89A4620 0000C41B
	ds_write_b64 v27, v[198:199] offset:18496                  // 00000000B3A0: D89A4840 0000C61B
	ds_write_b64 v27, v[200:201] offset:19040                  // 00000000B3A8: D89A4A60 0000C81B
	s_waitcnt lgkmcnt(0)                                       // 00000000B3B0: BF8CC07F
	s_barrier                                                  // 00000000B3B4: BF8A0000
	ds_read_b64 v[194:195], v26 offset:17408                   // 00000000B3B8: D8EC4400 C200001A
	ds_read_b64 v[196:197], v26 offset:17536                   // 00000000B3C0: D8EC4480 C400001A
	ds_read_b64 v[198:199], v26 offset:17472                   // 00000000B3C8: D8EC4440 C600001A
	ds_read_b64 v[200:201], v26 offset:17600                   // 00000000B3D0: D8EC44C0 C800001A
	s_waitcnt lgkmcnt(0)                                       // 00000000B3D8: BF8CC07F
	s_mov_b32 s70, s53                                         // 00000000B3DC: BEC60035
	buffer_store_dwordx4 v[194:197], v10, s[40:43], 0 idxen    // 00000000B3E0: E07C2000 800AC20A
	s_mul_i32 s60, 2, s70                                      // 00000000B3E8: 923C4682
	v_add_u32_e32 v10, s60, v10                                // 00000000B3EC: 6814143C
	buffer_store_dwordx4 v[198:201], v10, s[40:43], 0 idxen    // 00000000B3F0: E07C2000 800AC60A
	s_mul_i32 s60, 2, s70                                      // 00000000B3F8: 923C4682
	v_add_u32_e32 v10, s60, v10                                // 00000000B3FC: 6814143C
	s_mul_i32 s60, 12, s70                                     // 00000000B400: 923C468C
	v_add_u32_e32 v10, s60, v10                                // 00000000B404: 6814143C
	s_cmp_ge_i32 3, s73                                        // 00000000B408: BF034983
	s_cbranch_scc1 label_1D28                                  // 00000000B40C: BF850000

000000000000b410 <label_1D28>:
	s_waitcnt vmcnt(0) expcnt(0) lgkmcnt(0)                    // 00000000B410: BF8C0000
	s_endpgm                                                   // 00000000B414: BF810000
